;; amdgpu-corpus repo=ROCm/composable_kernel kind=compiled arch=gfx1201 opt=O3
	.amdgcn_target "amdgcn-amd-amdhsa--gfx1201"
	.amdhsa_code_object_version 6
	.section	.text._ZN2ckL12flush_icacheEv,"axG",@progbits,_ZN2ckL12flush_icacheEv,comdat
	.globl	_ZN2ckL12flush_icacheEv         ; -- Begin function _ZN2ckL12flush_icacheEv
	.p2align	8
	.type	_ZN2ckL12flush_icacheEv,@function
_ZN2ckL12flush_icacheEv:                ; @_ZN2ckL12flush_icacheEv
; %bb.0:
	;;#ASMSTART
	s_icache_inv 
	s_nop 0 
	s_nop 0 
	;; [unrolled: 1-line block ×16, first 2 shown]
	
	;;#ASMEND
	s_endpgm
	.section	.rodata,"a",@progbits
	.p2align	6, 0x0
	.amdhsa_kernel _ZN2ckL12flush_icacheEv
		.amdhsa_group_segment_fixed_size 0
		.amdhsa_private_segment_fixed_size 0
		.amdhsa_kernarg_size 0
		.amdhsa_user_sgpr_count 0
		.amdhsa_user_sgpr_dispatch_ptr 0
		.amdhsa_user_sgpr_queue_ptr 0
		.amdhsa_user_sgpr_kernarg_segment_ptr 0
		.amdhsa_user_sgpr_dispatch_id 0
		.amdhsa_user_sgpr_private_segment_size 0
		.amdhsa_wavefront_size32 1
		.amdhsa_uses_dynamic_stack 0
		.amdhsa_enable_private_segment 0
		.amdhsa_system_sgpr_workgroup_id_x 1
		.amdhsa_system_sgpr_workgroup_id_y 0
		.amdhsa_system_sgpr_workgroup_id_z 0
		.amdhsa_system_sgpr_workgroup_info 0
		.amdhsa_system_vgpr_workitem_id 0
		.amdhsa_next_free_vgpr 1
		.amdhsa_next_free_sgpr 1
		.amdhsa_reserve_vcc 0
		.amdhsa_float_round_mode_32 0
		.amdhsa_float_round_mode_16_64 0
		.amdhsa_float_denorm_mode_32 3
		.amdhsa_float_denorm_mode_16_64 3
		.amdhsa_fp16_overflow 0
		.amdhsa_workgroup_processor_mode 1
		.amdhsa_memory_ordered 1
		.amdhsa_forward_progress 1
		.amdhsa_inst_pref_size 1
		.amdhsa_round_robin_scheduling 0
		.amdhsa_exception_fp_ieee_invalid_op 0
		.amdhsa_exception_fp_denorm_src 0
		.amdhsa_exception_fp_ieee_div_zero 0
		.amdhsa_exception_fp_ieee_overflow 0
		.amdhsa_exception_fp_ieee_underflow 0
		.amdhsa_exception_fp_ieee_inexact 0
		.amdhsa_exception_int_div_zero 0
	.end_amdhsa_kernel
	.section	.text._ZN2ckL12flush_icacheEv,"axG",@progbits,_ZN2ckL12flush_icacheEv,comdat
.Lfunc_end0:
	.size	_ZN2ckL12flush_icacheEv, .Lfunc_end0-_ZN2ckL12flush_icacheEv
                                        ; -- End function
	.set _ZN2ckL12flush_icacheEv.num_vgpr, 0
	.set _ZN2ckL12flush_icacheEv.num_agpr, 0
	.set _ZN2ckL12flush_icacheEv.numbered_sgpr, 0
	.set _ZN2ckL12flush_icacheEv.num_named_barrier, 0
	.set _ZN2ckL12flush_icacheEv.private_seg_size, 0
	.set _ZN2ckL12flush_icacheEv.uses_vcc, 0
	.set _ZN2ckL12flush_icacheEv.uses_flat_scratch, 0
	.set _ZN2ckL12flush_icacheEv.has_dyn_sized_stack, 0
	.set _ZN2ckL12flush_icacheEv.has_recursion, 0
	.set _ZN2ckL12flush_icacheEv.has_indirect_call, 0
	.section	.AMDGPU.csdata,"",@progbits
; Kernel info:
; codeLenInByte = 4
; TotalNumSgprs: 0
; NumVgprs: 0
; ScratchSize: 0
; MemoryBound: 0
; FloatMode: 240
; IeeeMode: 1
; LDSByteSize: 0 bytes/workgroup (compile time only)
; SGPRBlocks: 0
; VGPRBlocks: 0
; NumSGPRsForWavesPerEU: 1
; NumVGPRsForWavesPerEU: 1
; Occupancy: 16
; WaveLimiterHint : 0
; COMPUTE_PGM_RSRC2:SCRATCH_EN: 0
; COMPUTE_PGM_RSRC2:USER_SGPR: 0
; COMPUTE_PGM_RSRC2:TRAP_HANDLER: 0
; COMPUTE_PGM_RSRC2:TGID_X_EN: 1
; COMPUTE_PGM_RSRC2:TGID_Y_EN: 0
; COMPUTE_PGM_RSRC2:TGID_Z_EN: 0
; COMPUTE_PGM_RSRC2:TIDIG_COMP_CNT: 0
	.section	.text._ZN2ck36kernel_gemm_mupltipe_d_wmma_cshuffleINS_26GridwiseGemmMultipleD_WmmaIaaiiNS_5TupleIJaEEEaNS_16TensorDescriptorINS2_IJNS_5EmbedINS2_IJiiEEENS2_IJiNS_17integral_constantIiLi1EEEEEELb0EEENS_11PassThroughIiEESC_NS_7UnMergeINS2_IJiNS7_IiLi8EEEEEELb0EEESC_EEENS2_IJNS_8SequenceIJLi0EEEENSI_IJLi1EEEENSI_IJLi2EEEENSI_IJLi4EEEENSI_IJLi3EEEEEEENS2_IJNSI_IJLi1ELi2EEEESN_SM_NSI_IJLi5ELi6EEEENSI_IJLi7EEEEEEENSI_IJLi5ELi7ELi6EEEElEESU_NS2_IJNS4_INS2_IJSA_SC_SC_EEENS2_IJSJ_SK_SL_EEENS2_IJSP_SN_SM_EEENSI_IJLi3ELi4EEEElEEEEESZ_NS_16tensor_operation12element_wise11PassThroughES13_12AlphaBetaAddLNS_25InMemoryDataOperationEnumE0ELi128ELi64ELi64ELi16ELi16ELi8ELi4ELi2ELi128ENSI_IJLi4ELi32ELi1EEEENSI_IJLi1ELi0ELi2EEEES17_Li2ELi8ELi8ELb0ELb1ELb1ES16_S17_S17_Li2ELi8ELi8ELb0ELb1ELb1ELi1ELi1ENSI_IJLi1ELi32ELi1ELi4EEEELi8ELi2ELNS_13LoopSchedulerE0ELNS_15PipelineVersionE0EEEaaNS2_IJPKaEEEaSU_SU_NS2_IJNS4_INS2_IJSA_SC_SC_NSD_INS2_IJiNS7_IiLi128EEEEEELb0EEENSD_INS2_IJiNS7_IiLi64EEEEEELb0EEEEEENS2_IJSJ_SK_SL_SN_SM_EEENS2_IJSP_SN_SM_SQ_NSI_IJLi7ELi8EEEEEEENSI_IJLi5ELi6ELi7ELi8EEEElEEEEES1Q_S13_S13_S14_NS_31BlockToCTileMap_M00_N0_M01AdaptILi128ELi64ESZ_iEELb1EEEvPKT0_PKT1_T2_PT3_T4_T5_T6_T7_T8_T9_T10_T11_,"axG",@progbits,_ZN2ck36kernel_gemm_mupltipe_d_wmma_cshuffleINS_26GridwiseGemmMultipleD_WmmaIaaiiNS_5TupleIJaEEEaNS_16TensorDescriptorINS2_IJNS_5EmbedINS2_IJiiEEENS2_IJiNS_17integral_constantIiLi1EEEEEELb0EEENS_11PassThroughIiEESC_NS_7UnMergeINS2_IJiNS7_IiLi8EEEEEELb0EEESC_EEENS2_IJNS_8SequenceIJLi0EEEENSI_IJLi1EEEENSI_IJLi2EEEENSI_IJLi4EEEENSI_IJLi3EEEEEEENS2_IJNSI_IJLi1ELi2EEEESN_SM_NSI_IJLi5ELi6EEEENSI_IJLi7EEEEEEENSI_IJLi5ELi7ELi6EEEElEESU_NS2_IJNS4_INS2_IJSA_SC_SC_EEENS2_IJSJ_SK_SL_EEENS2_IJSP_SN_SM_EEENSI_IJLi3ELi4EEEElEEEEESZ_NS_16tensor_operation12element_wise11PassThroughES13_12AlphaBetaAddLNS_25InMemoryDataOperationEnumE0ELi128ELi64ELi64ELi16ELi16ELi8ELi4ELi2ELi128ENSI_IJLi4ELi32ELi1EEEENSI_IJLi1ELi0ELi2EEEES17_Li2ELi8ELi8ELb0ELb1ELb1ES16_S17_S17_Li2ELi8ELi8ELb0ELb1ELb1ELi1ELi1ENSI_IJLi1ELi32ELi1ELi4EEEELi8ELi2ELNS_13LoopSchedulerE0ELNS_15PipelineVersionE0EEEaaNS2_IJPKaEEEaSU_SU_NS2_IJNS4_INS2_IJSA_SC_SC_NSD_INS2_IJiNS7_IiLi128EEEEEELb0EEENSD_INS2_IJiNS7_IiLi64EEEEEELb0EEEEEENS2_IJSJ_SK_SL_SN_SM_EEENS2_IJSP_SN_SM_SQ_NSI_IJLi7ELi8EEEEEEENSI_IJLi5ELi6ELi7ELi8EEEElEEEEES1Q_S13_S13_S14_NS_31BlockToCTileMap_M00_N0_M01AdaptILi128ELi64ESZ_iEELb1EEEvPKT0_PKT1_T2_PT3_T4_T5_T6_T7_T8_T9_T10_T11_,comdat
	.protected	_ZN2ck36kernel_gemm_mupltipe_d_wmma_cshuffleINS_26GridwiseGemmMultipleD_WmmaIaaiiNS_5TupleIJaEEEaNS_16TensorDescriptorINS2_IJNS_5EmbedINS2_IJiiEEENS2_IJiNS_17integral_constantIiLi1EEEEEELb0EEENS_11PassThroughIiEESC_NS_7UnMergeINS2_IJiNS7_IiLi8EEEEEELb0EEESC_EEENS2_IJNS_8SequenceIJLi0EEEENSI_IJLi1EEEENSI_IJLi2EEEENSI_IJLi4EEEENSI_IJLi3EEEEEEENS2_IJNSI_IJLi1ELi2EEEESN_SM_NSI_IJLi5ELi6EEEENSI_IJLi7EEEEEEENSI_IJLi5ELi7ELi6EEEElEESU_NS2_IJNS4_INS2_IJSA_SC_SC_EEENS2_IJSJ_SK_SL_EEENS2_IJSP_SN_SM_EEENSI_IJLi3ELi4EEEElEEEEESZ_NS_16tensor_operation12element_wise11PassThroughES13_12AlphaBetaAddLNS_25InMemoryDataOperationEnumE0ELi128ELi64ELi64ELi16ELi16ELi8ELi4ELi2ELi128ENSI_IJLi4ELi32ELi1EEEENSI_IJLi1ELi0ELi2EEEES17_Li2ELi8ELi8ELb0ELb1ELb1ES16_S17_S17_Li2ELi8ELi8ELb0ELb1ELb1ELi1ELi1ENSI_IJLi1ELi32ELi1ELi4EEEELi8ELi2ELNS_13LoopSchedulerE0ELNS_15PipelineVersionE0EEEaaNS2_IJPKaEEEaSU_SU_NS2_IJNS4_INS2_IJSA_SC_SC_NSD_INS2_IJiNS7_IiLi128EEEEEELb0EEENSD_INS2_IJiNS7_IiLi64EEEEEELb0EEEEEENS2_IJSJ_SK_SL_SN_SM_EEENS2_IJSP_SN_SM_SQ_NSI_IJLi7ELi8EEEEEEENSI_IJLi5ELi6ELi7ELi8EEEElEEEEES1Q_S13_S13_S14_NS_31BlockToCTileMap_M00_N0_M01AdaptILi128ELi64ESZ_iEELb1EEEvPKT0_PKT1_T2_PT3_T4_T5_T6_T7_T8_T9_T10_T11_ ; -- Begin function _ZN2ck36kernel_gemm_mupltipe_d_wmma_cshuffleINS_26GridwiseGemmMultipleD_WmmaIaaiiNS_5TupleIJaEEEaNS_16TensorDescriptorINS2_IJNS_5EmbedINS2_IJiiEEENS2_IJiNS_17integral_constantIiLi1EEEEEELb0EEENS_11PassThroughIiEESC_NS_7UnMergeINS2_IJiNS7_IiLi8EEEEEELb0EEESC_EEENS2_IJNS_8SequenceIJLi0EEEENSI_IJLi1EEEENSI_IJLi2EEEENSI_IJLi4EEEENSI_IJLi3EEEEEEENS2_IJNSI_IJLi1ELi2EEEESN_SM_NSI_IJLi5ELi6EEEENSI_IJLi7EEEEEEENSI_IJLi5ELi7ELi6EEEElEESU_NS2_IJNS4_INS2_IJSA_SC_SC_EEENS2_IJSJ_SK_SL_EEENS2_IJSP_SN_SM_EEENSI_IJLi3ELi4EEEElEEEEESZ_NS_16tensor_operation12element_wise11PassThroughES13_12AlphaBetaAddLNS_25InMemoryDataOperationEnumE0ELi128ELi64ELi64ELi16ELi16ELi8ELi4ELi2ELi128ENSI_IJLi4ELi32ELi1EEEENSI_IJLi1ELi0ELi2EEEES17_Li2ELi8ELi8ELb0ELb1ELb1ES16_S17_S17_Li2ELi8ELi8ELb0ELb1ELb1ELi1ELi1ENSI_IJLi1ELi32ELi1ELi4EEEELi8ELi2ELNS_13LoopSchedulerE0ELNS_15PipelineVersionE0EEEaaNS2_IJPKaEEEaSU_SU_NS2_IJNS4_INS2_IJSA_SC_SC_NSD_INS2_IJiNS7_IiLi128EEEEEELb0EEENSD_INS2_IJiNS7_IiLi64EEEEEELb0EEEEEENS2_IJSJ_SK_SL_SN_SM_EEENS2_IJSP_SN_SM_SQ_NSI_IJLi7ELi8EEEEEEENSI_IJLi5ELi6ELi7ELi8EEEElEEEEES1Q_S13_S13_S14_NS_31BlockToCTileMap_M00_N0_M01AdaptILi128ELi64ESZ_iEELb1EEEvPKT0_PKT1_T2_PT3_T4_T5_T6_T7_T8_T9_T10_T11_
	.globl	_ZN2ck36kernel_gemm_mupltipe_d_wmma_cshuffleINS_26GridwiseGemmMultipleD_WmmaIaaiiNS_5TupleIJaEEEaNS_16TensorDescriptorINS2_IJNS_5EmbedINS2_IJiiEEENS2_IJiNS_17integral_constantIiLi1EEEEEELb0EEENS_11PassThroughIiEESC_NS_7UnMergeINS2_IJiNS7_IiLi8EEEEEELb0EEESC_EEENS2_IJNS_8SequenceIJLi0EEEENSI_IJLi1EEEENSI_IJLi2EEEENSI_IJLi4EEEENSI_IJLi3EEEEEEENS2_IJNSI_IJLi1ELi2EEEESN_SM_NSI_IJLi5ELi6EEEENSI_IJLi7EEEEEEENSI_IJLi5ELi7ELi6EEEElEESU_NS2_IJNS4_INS2_IJSA_SC_SC_EEENS2_IJSJ_SK_SL_EEENS2_IJSP_SN_SM_EEENSI_IJLi3ELi4EEEElEEEEESZ_NS_16tensor_operation12element_wise11PassThroughES13_12AlphaBetaAddLNS_25InMemoryDataOperationEnumE0ELi128ELi64ELi64ELi16ELi16ELi8ELi4ELi2ELi128ENSI_IJLi4ELi32ELi1EEEENSI_IJLi1ELi0ELi2EEEES17_Li2ELi8ELi8ELb0ELb1ELb1ES16_S17_S17_Li2ELi8ELi8ELb0ELb1ELb1ELi1ELi1ENSI_IJLi1ELi32ELi1ELi4EEEELi8ELi2ELNS_13LoopSchedulerE0ELNS_15PipelineVersionE0EEEaaNS2_IJPKaEEEaSU_SU_NS2_IJNS4_INS2_IJSA_SC_SC_NSD_INS2_IJiNS7_IiLi128EEEEEELb0EEENSD_INS2_IJiNS7_IiLi64EEEEEELb0EEEEEENS2_IJSJ_SK_SL_SN_SM_EEENS2_IJSP_SN_SM_SQ_NSI_IJLi7ELi8EEEEEEENSI_IJLi5ELi6ELi7ELi8EEEElEEEEES1Q_S13_S13_S14_NS_31BlockToCTileMap_M00_N0_M01AdaptILi128ELi64ESZ_iEELb1EEEvPKT0_PKT1_T2_PT3_T4_T5_T6_T7_T8_T9_T10_T11_
	.p2align	8
	.type	_ZN2ck36kernel_gemm_mupltipe_d_wmma_cshuffleINS_26GridwiseGemmMultipleD_WmmaIaaiiNS_5TupleIJaEEEaNS_16TensorDescriptorINS2_IJNS_5EmbedINS2_IJiiEEENS2_IJiNS_17integral_constantIiLi1EEEEEELb0EEENS_11PassThroughIiEESC_NS_7UnMergeINS2_IJiNS7_IiLi8EEEEEELb0EEESC_EEENS2_IJNS_8SequenceIJLi0EEEENSI_IJLi1EEEENSI_IJLi2EEEENSI_IJLi4EEEENSI_IJLi3EEEEEEENS2_IJNSI_IJLi1ELi2EEEESN_SM_NSI_IJLi5ELi6EEEENSI_IJLi7EEEEEEENSI_IJLi5ELi7ELi6EEEElEESU_NS2_IJNS4_INS2_IJSA_SC_SC_EEENS2_IJSJ_SK_SL_EEENS2_IJSP_SN_SM_EEENSI_IJLi3ELi4EEEElEEEEESZ_NS_16tensor_operation12element_wise11PassThroughES13_12AlphaBetaAddLNS_25InMemoryDataOperationEnumE0ELi128ELi64ELi64ELi16ELi16ELi8ELi4ELi2ELi128ENSI_IJLi4ELi32ELi1EEEENSI_IJLi1ELi0ELi2EEEES17_Li2ELi8ELi8ELb0ELb1ELb1ES16_S17_S17_Li2ELi8ELi8ELb0ELb1ELb1ELi1ELi1ENSI_IJLi1ELi32ELi1ELi4EEEELi8ELi2ELNS_13LoopSchedulerE0ELNS_15PipelineVersionE0EEEaaNS2_IJPKaEEEaSU_SU_NS2_IJNS4_INS2_IJSA_SC_SC_NSD_INS2_IJiNS7_IiLi128EEEEEELb0EEENSD_INS2_IJiNS7_IiLi64EEEEEELb0EEEEEENS2_IJSJ_SK_SL_SN_SM_EEENS2_IJSP_SN_SM_SQ_NSI_IJLi7ELi8EEEEEEENSI_IJLi5ELi6ELi7ELi8EEEElEEEEES1Q_S13_S13_S14_NS_31BlockToCTileMap_M00_N0_M01AdaptILi128ELi64ESZ_iEELb1EEEvPKT0_PKT1_T2_PT3_T4_T5_T6_T7_T8_T9_T10_T11_,@function
_ZN2ck36kernel_gemm_mupltipe_d_wmma_cshuffleINS_26GridwiseGemmMultipleD_WmmaIaaiiNS_5TupleIJaEEEaNS_16TensorDescriptorINS2_IJNS_5EmbedINS2_IJiiEEENS2_IJiNS_17integral_constantIiLi1EEEEEELb0EEENS_11PassThroughIiEESC_NS_7UnMergeINS2_IJiNS7_IiLi8EEEEEELb0EEESC_EEENS2_IJNS_8SequenceIJLi0EEEENSI_IJLi1EEEENSI_IJLi2EEEENSI_IJLi4EEEENSI_IJLi3EEEEEEENS2_IJNSI_IJLi1ELi2EEEESN_SM_NSI_IJLi5ELi6EEEENSI_IJLi7EEEEEEENSI_IJLi5ELi7ELi6EEEElEESU_NS2_IJNS4_INS2_IJSA_SC_SC_EEENS2_IJSJ_SK_SL_EEENS2_IJSP_SN_SM_EEENSI_IJLi3ELi4EEEElEEEEESZ_NS_16tensor_operation12element_wise11PassThroughES13_12AlphaBetaAddLNS_25InMemoryDataOperationEnumE0ELi128ELi64ELi64ELi16ELi16ELi8ELi4ELi2ELi128ENSI_IJLi4ELi32ELi1EEEENSI_IJLi1ELi0ELi2EEEES17_Li2ELi8ELi8ELb0ELb1ELb1ES16_S17_S17_Li2ELi8ELi8ELb0ELb1ELb1ELi1ELi1ENSI_IJLi1ELi32ELi1ELi4EEEELi8ELi2ELNS_13LoopSchedulerE0ELNS_15PipelineVersionE0EEEaaNS2_IJPKaEEEaSU_SU_NS2_IJNS4_INS2_IJSA_SC_SC_NSD_INS2_IJiNS7_IiLi128EEEEEELb0EEENSD_INS2_IJiNS7_IiLi64EEEEEELb0EEEEEENS2_IJSJ_SK_SL_SN_SM_EEENS2_IJSP_SN_SM_SQ_NSI_IJLi7ELi8EEEEEEENSI_IJLi5ELi6ELi7ELi8EEEElEEEEES1Q_S13_S13_S14_NS_31BlockToCTileMap_M00_N0_M01AdaptILi128ELi64ESZ_iEELb1EEEvPKT0_PKT1_T2_PT3_T4_T5_T6_T7_T8_T9_T10_T11_: ; @_ZN2ck36kernel_gemm_mupltipe_d_wmma_cshuffleINS_26GridwiseGemmMultipleD_WmmaIaaiiNS_5TupleIJaEEEaNS_16TensorDescriptorINS2_IJNS_5EmbedINS2_IJiiEEENS2_IJiNS_17integral_constantIiLi1EEEEEELb0EEENS_11PassThroughIiEESC_NS_7UnMergeINS2_IJiNS7_IiLi8EEEEEELb0EEESC_EEENS2_IJNS_8SequenceIJLi0EEEENSI_IJLi1EEEENSI_IJLi2EEEENSI_IJLi4EEEENSI_IJLi3EEEEEEENS2_IJNSI_IJLi1ELi2EEEESN_SM_NSI_IJLi5ELi6EEEENSI_IJLi7EEEEEEENSI_IJLi5ELi7ELi6EEEElEESU_NS2_IJNS4_INS2_IJSA_SC_SC_EEENS2_IJSJ_SK_SL_EEENS2_IJSP_SN_SM_EEENSI_IJLi3ELi4EEEElEEEEESZ_NS_16tensor_operation12element_wise11PassThroughES13_12AlphaBetaAddLNS_25InMemoryDataOperationEnumE0ELi128ELi64ELi64ELi16ELi16ELi8ELi4ELi2ELi128ENSI_IJLi4ELi32ELi1EEEENSI_IJLi1ELi0ELi2EEEES17_Li2ELi8ELi8ELb0ELb1ELb1ES16_S17_S17_Li2ELi8ELi8ELb0ELb1ELb1ELi1ELi1ENSI_IJLi1ELi32ELi1ELi4EEEELi8ELi2ELNS_13LoopSchedulerE0ELNS_15PipelineVersionE0EEEaaNS2_IJPKaEEEaSU_SU_NS2_IJNS4_INS2_IJSA_SC_SC_NSD_INS2_IJiNS7_IiLi128EEEEEELb0EEENSD_INS2_IJiNS7_IiLi64EEEEEELb0EEEEEENS2_IJSJ_SK_SL_SN_SM_EEENS2_IJSP_SN_SM_SQ_NSI_IJLi7ELi8EEEEEEENSI_IJLi5ELi6ELi7ELi8EEEElEEEEES1Q_S13_S13_S14_NS_31BlockToCTileMap_M00_N0_M01AdaptILi128ELi64ESZ_iEELb1EEEvPKT0_PKT1_T2_PT3_T4_T5_T6_T7_T8_T9_T10_T11_
; %bb.0:
	s_clause 0x1
	s_load_b96 s[4:6], s[0:1], 0x11c
	s_load_b32 s28, s[0:1], 0x28
	s_abs_i32 s9, ttmp9
	v_dual_mov_b32 v58, 0 :: v_dual_and_b32 v65, 0xfc, v0
	v_lshrrev_b32_e32 v119, 1, v0
	v_dual_mov_b32 v59, 0 :: v_dual_mov_b32 v16, 0
	v_bfe_u32 v77, v0, 4, 1
	v_lshrrev_b32_e32 v122, 6, v0
	s_delay_alu instid0(VALU_DEP_4)
	v_and_b32_e32 v74, 0x7e, v119
	v_dual_mov_b32 v38, 0 :: v_dual_and_b32 v121, 16, v119
	v_mov_b32_e32 v39, 0
	v_mul_u32_u24_e32 v85, 0x208, v77
	v_dual_mov_b32 v40, 0 :: v_dual_mov_b32 v41, 0
	v_dual_mov_b32 v42, 0 :: v_dual_mov_b32 v43, 0
	;; [unrolled: 1-line block ×3, first 2 shown]
	s_wait_kmcnt 0x0
	s_add_co_i32 s2, s4, 0x7f
	s_add_co_i32 s3, s5, 63
	s_ashr_i32 s4, s2, 31
	s_ashr_i32 s5, s3, 31
	s_lshr_b32 s4, s4, 25
	s_lshr_b32 s5, s5, 26
	s_add_co_i32 s2, s2, s4
	s_add_co_i32 s3, s3, s5
	s_ashr_i32 s4, s2, 7
	s_ashr_i32 s3, s3, 6
	v_dual_mov_b32 v46, 0 :: v_dual_mov_b32 v47, 0
	s_mul_i32 s5, s3, s4
	v_dual_mov_b32 v48, 0 :: v_dual_mov_b32 v25, 0
	s_abs_i32 s5, s5
	v_dual_mov_b32 v26, 0 :: v_dual_mov_b32 v27, 0
	s_cvt_f32_u32 s7, s5
	s_sub_co_i32 s8, 0, s5
	v_dual_mov_b32 v28, 0 :: v_dual_mov_b32 v29, 0
	s_delay_alu instid0(SALU_CYCLE_1)
	v_rcp_iflag_f32_e32 v1, s7
	v_dual_mov_b32 v30, 0 :: v_dual_mov_b32 v31, 0
	v_dual_mov_b32 v32, 0 :: v_dual_mov_b32 v17, 0
	;; [unrolled: 1-line block ×5, first 2 shown]
	s_delay_alu instid0(TRANS32_DEP_1)
	v_readfirstlane_b32 s7, v1
	v_mov_b32_e32 v24, 0
	v_dual_mov_b32 v12, 0 :: v_dual_mov_b32 v13, 0
	v_dual_mov_b32 v14, 0 :: v_dual_mov_b32 v15, 0
	s_mul_f32 s7, s7, 0x4f7ffffe
	v_mov_b32_e32 v60, 0
	v_dual_mov_b32 v62, 0 :: v_dual_mov_b32 v57, 0
	s_wait_alu 0xfffe
	s_cvt_u32_f32 s7, s7
	v_mov_b32_e32 v64, 0
	v_dual_mov_b32 v50, 0 :: v_dual_mov_b32 v63, 0
	s_wait_alu 0xfffe
	s_mul_i32 s8, s8, s7
	v_mov_b32_e32 v61, 0
	s_mul_hi_u32 s8, s7, s8
	v_mov_b32_e32 v49, 0
	s_add_co_i32 s7, s7, s8
	s_ashr_i32 s8, ttmp9, 31
	s_wait_alu 0xfffe
	s_mul_hi_u32 s7, s9, s7
	v_mov_b32_e32 v52, 0
	s_wait_alu 0xfffe
	s_mul_i32 s7, s7, s5
	v_mov_b32_e32 v33, 0
	s_wait_alu 0xfffe
	s_sub_co_i32 s7, s9, s7
	v_mov_b32_e32 v51, 0
	s_wait_alu 0xfffe
	s_sub_co_i32 s9, s7, s5
	s_cmp_ge_u32 s7, s5
	v_mov_b32_e32 v54, 0
	s_cselect_b32 s7, s9, s7
	v_mov_b32_e32 v55, 0
	s_wait_alu 0xfffe
	s_sub_co_i32 s9, s7, s5
	s_cmp_ge_u32 s7, s5
	v_mov_b32_e32 v36, 0
	s_cselect_b32 s5, s9, s7
	s_abs_i32 s7, s3
	s_xor_b32 s5, s5, s8
	s_wait_alu 0xfffe
	s_cvt_f32_u32 s9, s7
	s_sub_co_i32 s10, 0, s7
	s_sub_co_i32 s5, s5, s8
	v_mov_b32_e32 v11, 0
	v_rcp_iflag_f32_e32 v1, s9
	v_dual_mov_b32 v53, 0 :: v_dual_mov_b32 v56, 0
	v_dual_mov_b32 v34, 0 :: v_dual_mov_b32 v35, 0
	v_mov_b32_e32 v37, 0
	s_delay_alu instid0(TRANS32_DEP_1) | instskip(SKIP_2) | instid1(SALU_CYCLE_2)
	v_readfirstlane_b32 s9, v1
	s_mul_f32 s9, s9, 0x4f7ffffe
	s_wait_alu 0xfffe
	s_cvt_u32_f32 s9, s9
	s_wait_alu 0xfffe
	s_delay_alu instid0(SALU_CYCLE_2) | instskip(NEXT) | instid1(SALU_CYCLE_1)
	s_mul_i32 s10, s10, s9
	s_mul_hi_u32 s8, s9, s10
	s_abs_i32 s10, s5
	s_wait_alu 0xfffe
	s_add_co_i32 s9, s9, s8
	s_wait_alu 0xfffe
	s_mul_hi_u32 s8, s10, s9
	s_xor_b32 s9, s5, s3
	s_wait_alu 0xfffe
	s_mul_i32 s11, s8, s7
	s_ashr_i32 s9, s9, 31
	s_sub_co_i32 s10, s10, s11
	s_add_co_i32 s11, s8, 1
	s_sub_co_i32 s12, s10, s7
	s_cmp_ge_u32 s10, s7
	s_cselect_b32 s8, s11, s8
	s_cselect_b32 s10, s12, s10
	s_wait_alu 0xfffe
	s_add_co_i32 s11, s8, 1
	s_cmp_ge_u32 s10, s7
	s_cselect_b32 s7, s11, s8
	s_abs_i32 s8, s6
	s_abs_i32 s12, s4
	s_wait_alu 0xfffe
	s_cvt_f32_u32 s10, s8
	s_sub_co_i32 s11, 0, s8
	s_xor_b32 s7, s7, s9
	s_ashr_i32 s2, s2, 31
	v_rcp_iflag_f32_e32 v1, s10
	s_wait_alu 0xfffe
	s_sub_co_i32 s7, s7, s9
	s_delay_alu instid0(TRANS32_DEP_1) | instskip(SKIP_2) | instid1(SALU_CYCLE_2)
	v_readfirstlane_b32 s10, v1
	s_mul_f32 s10, s10, 0x4f7ffffe
	s_wait_alu 0xfffe
	s_cvt_u32_f32 s10, s10
	s_wait_alu 0xfffe
	s_delay_alu instid0(SALU_CYCLE_2)
	s_mul_i32 s11, s11, s10
	s_wait_alu 0xfffe
	s_mul_hi_u32 s11, s10, s11
	s_wait_alu 0xfffe
	s_add_co_i32 s10, s10, s11
	s_wait_alu 0xfffe
	s_mul_hi_u32 s11, s12, s10
	s_wait_alu 0xfffe
	s_mul_i32 s11, s11, s8
	s_wait_alu 0xfffe
	s_sub_co_i32 s11, s12, s11
	s_wait_alu 0xfffe
	s_sub_co_i32 s9, s11, s8
	s_cmp_ge_u32 s11, s8
	s_wait_alu 0xfffe
	s_cselect_b32 s9, s9, s11
	s_wait_alu 0xfffe
	s_sub_co_i32 s11, s9, s8
	s_cmp_ge_u32 s9, s8
	s_wait_alu 0xfffe
	s_cselect_b32 s9, s11, s9
	s_wait_alu 0xfffe
	s_xor_b32 s9, s9, s2
	s_wait_alu 0xfffe
	s_sub_co_i32 s2, s9, s2
	s_mul_i32 s9, s7, s3
	s_sub_co_i32 s4, s4, s2
	s_delay_alu instid0(SALU_CYCLE_1)
	s_cmp_lt_i32 s7, s4
	s_cselect_b32 s2, s6, s2
	s_abs_i32 s4, s7
	s_wait_alu 0xfffe
	s_sub_co_i32 s5, s5, s9
	s_mul_hi_u32 s6, s4, s10
	s_wait_alu 0xfffe
	s_mul_i32 s6, s6, s8
	s_wait_alu 0xfffe
	s_sub_co_i32 s4, s4, s6
	s_ashr_i32 s6, s7, 31
	s_sub_co_i32 s9, s4, s8
	s_cmp_ge_u32 s4, s8
	s_wait_alu 0xfffe
	s_cselect_b32 s4, s9, s4
	s_delay_alu instid0(SALU_CYCLE_1)
	s_sub_co_i32 s9, s4, s8
	s_cmp_ge_u32 s4, s8
	s_wait_alu 0xfffe
	s_cselect_b32 s4, s9, s4
	s_abs_i32 s8, s2
	s_xor_b32 s4, s4, s6
	s_wait_alu 0xfffe
	s_cvt_f32_u32 s9, s8
	s_sub_co_i32 s4, s4, s6
	s_sub_co_i32 s6, 0, s8
	s_mul_i32 s3, s4, s3
	s_wait_alu 0xfffe
	v_rcp_iflag_f32_e32 v1, s9
	s_add_co_i32 s3, s3, s5
	s_delay_alu instid0(TRANS32_DEP_1) | instskip(SKIP_2) | instid1(VALU_DEP_1)
	v_readfirstlane_b32 s9, v1
	v_lshlrev_b32_e32 v1, 1, v0
	s_mul_f32 s9, s9, 0x4f7ffffe
	v_and_b32_e32 v73, 6, v1
	s_wait_alu 0xfffe
	s_delay_alu instid0(SALU_CYCLE_1) | instskip(NEXT) | instid1(VALU_DEP_1)
	s_cvt_u32_f32 s9, s9
	v_lshlrev_b32_e32 v124, 3, v73
	v_mul_u32_u24_e32 v81, 0x408, v73
	s_wait_alu 0xfffe
	s_mul_i32 s6, s6, s9
	s_wait_alu 0xfffe
	s_mul_hi_u32 s5, s9, s6
	s_abs_i32 s6, s3
	s_add_co_i32 s9, s9, s5
	s_wait_alu 0xfffe
	s_mul_hi_u32 s5, s6, s9
	s_xor_b32 s9, s3, s2
	s_mul_i32 s10, s5, s8
	s_wait_alu 0xfffe
	s_ashr_i32 s9, s9, 31
	s_sub_co_i32 s6, s6, s10
	s_add_co_i32 s10, s5, 1
	s_wait_alu 0xfffe
	s_sub_co_i32 s11, s6, s8
	s_cmp_ge_u32 s6, s8
	s_cselect_b32 s5, s10, s5
	s_wait_alu 0xfffe
	s_cselect_b32 s6, s11, s6
	s_add_co_i32 s10, s5, 1
	s_wait_alu 0xfffe
	s_cmp_ge_u32 s6, s8
	s_mov_b32 s11, 0x31004000
	s_cselect_b32 s5, s10, s5
	s_sub_co_i32 s27, s7, s4
	s_xor_b32 s5, s5, s9
	s_wait_alu 0xfffe
	s_mov_b32 s23, s11
	s_sub_co_i32 s26, s5, s9
	s_load_b64 s[4:5], s[0:1], 0x18
	s_mul_i32 s2, s26, s2
	v_lshl_add_u32 v2, s26, 6, v74
	s_sub_co_i32 s2, s3, s2
	s_mov_b32 s15, s11
	s_add_co_i32 s27, s27, s2
	s_clause 0x7
	s_load_b32 s13, s[0:1], 0x38
	s_load_b32 s10, s[0:1], 0x50
	;; [unrolled: 1-line block ×5, first 2 shown]
	s_load_b64 s[2:3], s[0:1], 0xc8
	s_load_b32 s24, s[0:1], 0xd8
	s_load_b128 s[16:19], s[0:1], 0x0
	v_lshl_add_u32 v66, s27, 7, v65
	s_wait_kmcnt 0x0
	s_mul_i32 s3, s28, -3
	s_delay_alu instid0(VALU_DEP_1) | instskip(NEXT) | instid1(VALU_DEP_1)
	v_mul_lo_u32 v123, v66, s28
	v_add_nc_u32_e32 v1, v123, v124
	v_mul_lo_u32 v128, v2, s29
	s_mov_b32 s22, s14
	s_delay_alu instid0(VALU_DEP_2) | instskip(SKIP_3) | instid1(VALU_DEP_2)
	v_add_nc_u32_e32 v3, s28, v1
	s_and_b32 s19, s19, 0xffff
	s_and_b32 s17, s17, 0xffff
	s_mov_b32 s8, s16
	v_add_nc_u32_e32 v4, v128, v124
	v_add_nc_u32_e32 v2, s28, v3
	s_mov_b32 s20, s18
	s_mov_b32 s21, s19
	;; [unrolled: 1-line block ×3, first 2 shown]
	s_clause 0x1
	buffer_load_b128 v[89:92], v4, s[20:23], null offen
	buffer_load_b128 v[69:72], v4, s[20:23], null offen offset:64
	v_add_nc_u32_e32 v5, s28, v2
	s_clause 0x1
	buffer_load_b128 v[101:104], v1, s[8:11], null offen
	buffer_load_b128 v[135:138], v2, s[8:11], null offen
	v_add_nc_u32_e32 v6, s29, v4
	v_add_nc_u32_e32 v2, 8, v3
	v_lshlrev_b32_e32 v73, 9, v73
	v_add3_u32 v7, s3, 64, v5
	v_lshlrev_b32_e32 v74, 3, v74
	v_add_nc_u32_e32 v4, 8, v6
	v_add_nc_u32_e32 v9, 0x48, v6
	;; [unrolled: 1-line block ×4, first 2 shown]
	s_clause 0x3
	buffer_load_b64 v[93:94], v4, s[20:23], null offen
	buffer_load_b64 v[75:76], v9, s[20:23], null offen
	;; [unrolled: 1-line block ×4, first 2 shown]
	s_clause 0x2
	buffer_load_b128 v[139:142], v7, s[8:11], null offen
	buffer_load_b64 v[97:98], v2, s[8:11], null offen
	buffer_load_b64 v[83:84], v3, s[8:11], null offen
	v_add_nc_u32_e32 v1, s28, v8
	v_add_nc_u32_e32 v3, 8, v5
	;; [unrolled: 1-line block ×3, first 2 shown]
	v_sub_nc_u32_e32 v73, v81, v73
	v_and_b32_e32 v120, 15, v0
	buffer_load_b128 v[143:146], v1, s[8:11], null offen
	v_add_nc_u32_e32 v1, s28, v1
	v_add_nc_u32_e32 v131, s29, v128
	v_lshlrev_b32_e32 v65, 3, v65
	v_add_nc_u32_e32 v134, s28, v123
	v_dual_mov_b32 v6, 0 :: v_dual_mov_b32 v7, 0
	v_add_nc_u32_e32 v4, 8, v1
	s_clause 0x5
	buffer_load_b64 v[79:80], v5, s[8:11], null offen
	buffer_load_b64 v[99:100], v3, s[8:11], null offen
	;; [unrolled: 1-line block ×6, first 2 shown]
	s_clause 0x1
	s_load_b64 s[6:7], s[0:1], 0x108
	s_load_b64 s[20:21], s[0:1], 0x114
	s_wait_kmcnt 0x0
	s_ashr_i32 s7, s13, 31
	v_mov_b32_e32 v1, 0
	s_wait_alu 0xfffe
	s_lshr_b32 s7, s7, 29
	v_dual_mov_b32 v2, 0 :: v_dual_mov_b32 v3, 0
	s_wait_alu 0xfffe
	s_add_co_i32 s7, s13, s7
	v_dual_mov_b32 v4, 0 :: v_dual_mov_b32 v5, 0
	v_dual_mov_b32 v8, 0 :: v_dual_mov_b32 v9, 0
	v_mov_b32_e32 v10, 0
	s_wait_alu 0xfffe
	s_ashr_i32 s7, s7, 3
	s_mov_b32 s3, 0
	s_mov_b32 s12, s18
	;; [unrolled: 1-line block ×3, first 2 shown]
	s_wait_alu 0xfffe
	s_add_co_i32 s7, s7, -2
	s_wait_loadcnt 0xf
	v_dual_mov_b32 v116, v104 :: v_dual_mov_b32 v115, v103
	v_add_nc_u32_e32 v126, v73, v74
	v_dual_mov_b32 v74, v72 :: v_dual_mov_b32 v73, v71
	v_or_b32_e32 v82, v121, v120
	v_lshlrev_b32_e32 v78, 3, v120
	v_add_nc_u32_e32 v127, v81, v65
	s_wait_loadcnt 0xe
	v_mov_b32_e32 v117, v137
	v_or_b32_e32 v65, 3, v66
	v_lshlrev_b32_e32 v82, 3, v82
	v_or_b32_e32 v66, 2, v66
	s_wait_loadcnt 0x9
	v_dual_mov_b32 v109, v141 :: v_dual_mov_b32 v118, v138
	v_mul_lo_u32 v132, s28, v65
	v_dual_mov_b32 v81, v101 :: v_dual_add_nc_u32 v130, v82, v85
	v_lshl_or_b32 v78, v122, 7, v78
	v_mul_lo_u32 v133, s28, v66
	v_dual_mov_b32 v65, v139 :: v_dual_mov_b32 v66, v140
	s_wait_loadcnt 0x6
	v_mov_b32_e32 v85, v143
	v_mad_u32_u24 v125, 0x408, v77, v78
	v_dual_mov_b32 v77, v135 :: v_dual_mov_b32 v78, v136
	v_dual_mov_b32 v113, v145 :: v_dual_mov_b32 v82, v102
	v_dual_mov_b32 v110, v142 :: v_dual_add_nc_u32 v129, 0x2038, v126
	v_dual_mov_b32 v114, v146 :: v_dual_add_nc_u32 v135, 0x2000, v130
	;; [unrolled: 1-line block ×3, first 2 shown]
	v_add_nc_u32_e32 v136, 0x800, v125
	v_add_nc_u32_e32 v138, 0x2800, v130
	;; [unrolled: 1-line block ×3, first 2 shown]
.LBB1_1:                                ; =>This Inner Loop Header: Depth=1
	v_add_nc_u32_e32 v71, v124, v123
	v_add_nc_u32_e32 v149, v124, v134
	;; [unrolled: 1-line block ×4, first 2 shown]
	ds_store_b128 v127, v[81:84]
	v_add_nc_u32_e32 v148, v124, v128
	s_wait_loadcnt 0x5
	ds_store_b128 v127, v[77:80] offset:16
	s_wait_loadcnt 0x4
	ds_store_2addr_b64 v127, v[117:118], v[99:100] offset0:131 offset1:132
	ds_store_2addr_b64 v127, v[115:116], v[97:98] offset0:129 offset1:130
	ds_store_2addr_b64 v129, v[89:90], v[95:96] offset1:1
	ds_store_b128 v126, v[91:94] offset:8768
	v_add_nc_u32_e32 v72, v124, v131
	s_clause 0x3
	buffer_load_b128 v[81:84], v71, s[8:11], null offen offset:128
	buffer_load_b128 v[97:100], v149, s[8:11], null offen offset:128
	buffer_load_b128 v[77:80], v150, s[8:11], null offen offset:128
	buffer_load_b128 v[93:96], v151, s[8:11], null offen offset:128
	s_clause 0x1
	buffer_load_b128 v[89:92], v148, s[12:15], null offen offset:128
	buffer_load_b128 v[101:104], v72, s[12:15], null offen offset:128
	s_wait_dscnt 0x0
	s_barrier_signal -1
	s_barrier_wait -1
	ds_load_2addr_b64 v[115:118], v125 offset1:32
	ds_load_2addr_b64 v[140:143], v135 offset0:7 offset1:39
	v_add_nc_u32_e32 v131, 0x80, v131
	v_add_nc_u32_e32 v123, 0x80, v123
	;; [unrolled: 1-line block ×6, first 2 shown]
	s_add_co_i32 s3, s3, 2
	s_wait_alu 0xfffe
	s_cmp_lt_i32 s3, s7
	s_wait_dscnt 0x0
	v_wmma_i32_16x16x16_iu8 v[57:64], v[115:116], v[140:141], v[57:64] neg_lo:[1,1,0]
	v_wmma_i32_16x16x16_iu8 v[33:40], v[117:118], v[140:141], v[33:40] neg_lo:[1,1,0]
	v_wmma_i32_16x16x16_iu8 v[49:56], v[115:116], v[142:143], v[49:56] neg_lo:[1,1,0]
	v_wmma_i32_16x16x16_iu8 v[41:48], v[117:118], v[142:143], v[41:48] neg_lo:[1,1,0]
	ds_load_2addr_b64 v[115:118], v125 offset0:64 offset1:96
	s_wait_dscnt 0x0
	v_wmma_i32_16x16x16_iu8 v[25:32], v[115:116], v[140:141], v[25:32] neg_lo:[1,1,0]
	v_wmma_i32_16x16x16_iu8 v[1:8], v[117:118], v[140:141], v[1:8] neg_lo:[1,1,0]
	v_wmma_i32_16x16x16_iu8 v[17:24], v[115:116], v[142:143], v[17:24] neg_lo:[1,1,0]
	v_wmma_i32_16x16x16_iu8 v[9:16], v[117:118], v[142:143], v[9:16] neg_lo:[1,1,0]
	ds_load_2addr_b64 v[115:118], v136 offset0:2 offset1:34
	ds_load_2addr_b64 v[140:143], v135 offset0:137 offset1:169
	s_wait_dscnt 0x0
	v_wmma_i32_16x16x16_iu8 v[57:64], v[115:116], v[140:141], v[57:64] neg_lo:[1,1,0]
	v_wmma_i32_16x16x16_iu8 v[33:40], v[117:118], v[140:141], v[33:40] neg_lo:[1,1,0]
	v_wmma_i32_16x16x16_iu8 v[49:56], v[115:116], v[142:143], v[49:56] neg_lo:[1,1,0]
	v_wmma_i32_16x16x16_iu8 v[41:48], v[117:118], v[142:143], v[41:48] neg_lo:[1,1,0]
	ds_load_2addr_b64 v[115:118], v136 offset0:66 offset1:98
	s_wait_dscnt 0x0
	v_wmma_i32_16x16x16_iu8 v[25:32], v[115:116], v[140:141], v[25:32] neg_lo:[1,1,0]
	v_wmma_i32_16x16x16_iu8 v[1:8], v[117:118], v[140:141], v[1:8] neg_lo:[1,1,0]
	v_wmma_i32_16x16x16_iu8 v[17:24], v[115:116], v[142:143], v[17:24] neg_lo:[1,1,0]
	v_wmma_i32_16x16x16_iu8 v[9:16], v[117:118], v[142:143], v[9:16] neg_lo:[1,1,0]
	ds_load_2addr_b64 v[115:118], v137 offset0:4 offset1:36
	ds_load_2addr_b64 v[140:143], v138 offset0:11 offset1:43
	s_wait_dscnt 0x0
	v_wmma_i32_16x16x16_iu8 v[57:64], v[115:116], v[140:141], v[57:64] neg_lo:[1,1,0]
	v_wmma_i32_16x16x16_iu8 v[33:40], v[117:118], v[140:141], v[33:40] neg_lo:[1,1,0]
	v_wmma_i32_16x16x16_iu8 v[49:56], v[115:116], v[142:143], v[49:56] neg_lo:[1,1,0]
	v_wmma_i32_16x16x16_iu8 v[41:48], v[117:118], v[142:143], v[41:48] neg_lo:[1,1,0]
	ds_load_2addr_b64 v[115:118], v137 offset0:68 offset1:100
	s_wait_dscnt 0x0
	v_wmma_i32_16x16x16_iu8 v[25:32], v[115:116], v[140:141], v[25:32] neg_lo:[1,1,0]
	v_wmma_i32_16x16x16_iu8 v[1:8], v[117:118], v[140:141], v[1:8] neg_lo:[1,1,0]
	v_wmma_i32_16x16x16_iu8 v[17:24], v[115:116], v[142:143], v[17:24] neg_lo:[1,1,0]
	v_wmma_i32_16x16x16_iu8 v[9:16], v[117:118], v[142:143], v[9:16] neg_lo:[1,1,0]
	ds_load_2addr_b64 v[115:118], v139 offset0:6 offset1:38
	ds_load_2addr_b64 v[140:143], v138 offset0:141 offset1:173
	ds_load_2addr_b64 v[144:147], v139 offset0:70 offset1:102
	s_wait_dscnt 0x0
	s_barrier_signal -1
	s_barrier_wait -1
	s_wait_loadcnt 0x9
	ds_store_b128 v127, v[65:68]
	s_wait_loadcnt 0x7
	ds_store_b128 v127, v[85:88] offset:16
	s_wait_loadcnt 0x6
	ds_store_2addr_b64 v127, v[113:114], v[111:112] offset0:131 offset1:132
	v_wmma_i32_16x16x16_iu8 v[57:64], v[115:116], v[140:141], v[57:64] neg_lo:[1,1,0]
	v_wmma_i32_16x16x16_iu8 v[49:56], v[115:116], v[142:143], v[49:56] neg_lo:[1,1,0]
	;; [unrolled: 1-line block ×8, first 2 shown]
	s_wait_loadcnt 0x5
	v_dual_mov_b32 v116, v84 :: v_dual_mov_b32 v115, v83
	s_wait_loadcnt 0x3
	v_dual_mov_b32 v83, v97 :: v_dual_mov_b32 v118, v80
	v_dual_mov_b32 v84, v98 :: v_dual_mov_b32 v97, v99
	v_mov_b32_e32 v117, v79
	s_wait_loadcnt 0x2
	v_dual_mov_b32 v79, v93 :: v_dual_mov_b32 v98, v100
	v_mov_b32_e32 v80, v94
	s_wait_loadcnt 0x0
	v_dual_mov_b32 v100, v96 :: v_dual_mov_b32 v93, v103
	s_clause 0x1
	buffer_load_b128 v[65:68], v71, s[8:11], null offen offset:192
	buffer_load_b128 v[111:114], v149, s[8:11], null offen offset:192
	ds_store_2addr_b64 v127, v[109:110], v[107:108] offset0:129 offset1:130
	v_dual_mov_b32 v99, v95 :: v_dual_mov_b32 v94, v104
	v_dual_mov_b32 v95, v101 :: v_dual_mov_b32 v96, v102
	s_clause 0x1
	buffer_load_b128 v[85:88], v150, s[8:11], null offen offset:192
	buffer_load_b128 v[140:143], v151, s[8:11], null offen offset:192
	ds_store_2addr_b64 v129, v[69:70], v[105:106] offset1:1
	s_clause 0x1
	buffer_load_b128 v[144:147], v72, s[12:15], null offen offset:192
	buffer_load_b128 v[69:72], v148, s[12:15], null offen offset:192
	ds_store_b128 v126, v[73:76] offset:8768
	s_wait_dscnt 0x0
	s_barrier_signal -1
	s_barrier_wait -1
	ds_load_2addr_b64 v[73:76], v125 offset1:32
	ds_load_2addr_b64 v[105:108], v135 offset0:7 offset1:39
	s_wait_dscnt 0x0
	v_wmma_i32_16x16x16_iu8 v[57:64], v[73:74], v[105:106], v[57:64] neg_lo:[1,1,0]
	v_wmma_i32_16x16x16_iu8 v[33:40], v[75:76], v[105:106], v[33:40] neg_lo:[1,1,0]
	v_wmma_i32_16x16x16_iu8 v[49:56], v[73:74], v[107:108], v[49:56] neg_lo:[1,1,0]
	v_wmma_i32_16x16x16_iu8 v[41:48], v[75:76], v[107:108], v[41:48] neg_lo:[1,1,0]
	ds_load_2addr_b64 v[73:76], v125 offset0:64 offset1:96
	s_wait_dscnt 0x0
	v_wmma_i32_16x16x16_iu8 v[25:32], v[73:74], v[105:106], v[25:32] neg_lo:[1,1,0]
	v_wmma_i32_16x16x16_iu8 v[1:8], v[75:76], v[105:106], v[1:8] neg_lo:[1,1,0]
	v_wmma_i32_16x16x16_iu8 v[17:24], v[73:74], v[107:108], v[17:24] neg_lo:[1,1,0]
	v_wmma_i32_16x16x16_iu8 v[9:16], v[75:76], v[107:108], v[9:16] neg_lo:[1,1,0]
	ds_load_2addr_b64 v[73:76], v136 offset0:2 offset1:34
	ds_load_2addr_b64 v[105:108], v135 offset0:137 offset1:169
	s_wait_dscnt 0x0
	v_wmma_i32_16x16x16_iu8 v[57:64], v[73:74], v[105:106], v[57:64] neg_lo:[1,1,0]
	v_wmma_i32_16x16x16_iu8 v[33:40], v[75:76], v[105:106], v[33:40] neg_lo:[1,1,0]
	v_wmma_i32_16x16x16_iu8 v[49:56], v[73:74], v[107:108], v[49:56] neg_lo:[1,1,0]
	v_wmma_i32_16x16x16_iu8 v[41:48], v[75:76], v[107:108], v[41:48] neg_lo:[1,1,0]
	ds_load_2addr_b64 v[73:76], v136 offset0:66 offset1:98
	s_wait_dscnt 0x0
	v_wmma_i32_16x16x16_iu8 v[25:32], v[73:74], v[105:106], v[25:32] neg_lo:[1,1,0]
	v_wmma_i32_16x16x16_iu8 v[1:8], v[75:76], v[105:106], v[1:8] neg_lo:[1,1,0]
	v_wmma_i32_16x16x16_iu8 v[17:24], v[73:74], v[107:108], v[17:24] neg_lo:[1,1,0]
	v_wmma_i32_16x16x16_iu8 v[9:16], v[75:76], v[107:108], v[9:16] neg_lo:[1,1,0]
	ds_load_2addr_b64 v[73:76], v137 offset0:4 offset1:36
	;; [unrolled: 13-line block ×3, first 2 shown]
	ds_load_2addr_b64 v[105:108], v138 offset0:141 offset1:173
	s_wait_dscnt 0x0
	v_wmma_i32_16x16x16_iu8 v[57:64], v[73:74], v[105:106], v[57:64] neg_lo:[1,1,0]
	v_wmma_i32_16x16x16_iu8 v[33:40], v[75:76], v[105:106], v[33:40] neg_lo:[1,1,0]
	;; [unrolled: 1-line block ×4, first 2 shown]
	ds_load_2addr_b64 v[73:76], v139 offset0:70 offset1:102
	s_wait_dscnt 0x0
	s_barrier_signal -1
	s_barrier_wait -1
	v_wmma_i32_16x16x16_iu8 v[25:32], v[73:74], v[105:106], v[25:32] neg_lo:[1,1,0]
	v_wmma_i32_16x16x16_iu8 v[1:8], v[75:76], v[105:106], v[1:8] neg_lo:[1,1,0]
	;; [unrolled: 1-line block ×4, first 2 shown]
	s_wait_loadcnt 0x5
	v_dual_mov_b32 v110, v68 :: v_dual_mov_b32 v109, v67
	s_wait_loadcnt 0x4
	v_dual_mov_b32 v67, v111 :: v_dual_mov_b32 v68, v112
	v_dual_mov_b32 v107, v113 :: v_dual_mov_b32 v108, v114
	s_wait_loadcnt 0x3
	v_dual_mov_b32 v114, v88 :: v_dual_mov_b32 v113, v87
	s_wait_loadcnt 0x2
	v_dual_mov_b32 v87, v140 :: v_dual_mov_b32 v88, v141
	v_dual_mov_b32 v111, v142 :: v_dual_mov_b32 v112, v143
	s_wait_loadcnt 0x1
	v_dual_mov_b32 v105, v144 :: v_dual_mov_b32 v106, v145
	;; [unrolled: 3-line block ×3, first 2 shown]
	s_cbranch_scc1 .LBB1_1
; %bb.2:
	ds_store_b128 v127, v[81:84]
	ds_store_b128 v127, v[77:80] offset:16
	ds_store_2addr_b64 v127, v[117:118], v[99:100] offset0:131 offset1:132
	ds_store_2addr_b64 v127, v[115:116], v[97:98] offset0:129 offset1:130
	ds_store_2addr_b64 v129, v[89:90], v[95:96] offset1:1
	ds_store_b128 v126, v[91:94] offset:8768
	s_wait_dscnt 0x0
	s_barrier_signal -1
	s_barrier_wait -1
	ds_load_2addr_b64 v[77:80], v125 offset1:32
	v_add_nc_u32_e32 v71, 0x2000, v130
	v_add_nc_u32_e32 v123, 0x800, v125
	;; [unrolled: 1-line block ×5, first 2 shown]
	ds_load_2addr_b64 v[81:84], v71 offset0:7 offset1:39
	ds_load_2addr_b64 v[89:92], v123 offset0:2 offset1:34
	;; [unrolled: 1-line block ×11, first 2 shown]
	s_wait_dscnt 0x0
	s_barrier_signal -1
	s_barrier_wait -1
	ds_store_b128 v127, v[65:68]
	ds_store_b128 v127, v[85:88] offset:16
	ds_store_2addr_b64 v127, v[113:114], v[111:112] offset0:131 offset1:132
	ds_store_2addr_b64 v127, v[109:110], v[107:108] offset0:129 offset1:130
	ds_store_2addr_b64 v129, v[69:70], v[105:106] offset1:1
	ds_store_b128 v126, v[73:76] offset:8768
	s_wait_dscnt 0x0
	s_barrier_signal -1
	s_barrier_wait -1
	ds_load_2addr_b64 v[65:68], v71 offset0:7 offset1:39
	ds_load_2addr_b64 v[69:72], v71 offset0:137 offset1:169
	;; [unrolled: 1-line block ×4, first 2 shown]
	ds_load_2addr_b64 v[105:108], v125 offset1:32
	ds_load_2addr_b64 v[109:112], v123 offset0:2 offset1:34
	ds_load_2addr_b64 v[126:129], v124 offset0:4 offset1:36
	;; [unrolled: 1-line block ×7, first 2 shown]
	s_load_b64 s[0:1], s[0:1], 0x10
	v_perm_b32 v78, v78, v78, 0x3020504
	s_wait_dscnt 0x0
	s_barrier_signal -1
	s_barrier_wait -1
	s_mov_b32 s3, 0x31004000
	v_perm_b32 v116, v116, v116, 0x3020504
	v_perm_b32 v90, v90, v90, 0x3020504
	v_wmma_i32_16x16x16_iu8 v[33:40], v[79:80], v[81:82], v[33:40] neg_lo:[1,1,0]
	v_wmma_i32_16x16x16_iu8 v[25:32], v[134:135], v[81:82], v[25:32] neg_lo:[1,1,0]
	;; [unrolled: 1-line block ×7, first 2 shown]
	v_perm_b32 v98, v98, v98, 0x3020504
	v_wmma_i32_16x16x16_iu8 v[33:40], v[91:92], v[93:94], v[33:40] neg_lo:[1,1,0]
	v_wmma_i32_16x16x16_iu8 v[25:32], v[138:139], v[93:94], v[25:32] neg_lo:[1,1,0]
	;; [unrolled: 1-line block ×37, first 2 shown]
	v_lshlrev_b32_e32 v65, 4, v122
	v_and_b32_e32 v66, 8, v119
	v_lshrrev_b32_e32 v69, 7, v0
	v_bfe_u32 v70, v0, 2, 5
	v_lshlrev_b32_e32 v0, 3, v0
	v_wmma_i32_16x16x16_iu8 v[41:48], v[111:112], v[71:72], v[41:48] neg_lo:[1,1,0]
	v_wmma_i32_16x16x16_iu8 v[17:24], v[158:159], v[71:72], v[17:24] neg_lo:[1,1,0]
	;; [unrolled: 1-line block ×5, first 2 shown]
	v_and_or_b32 v65, v65, 16, v66
	v_and_b32_e32 v71, 24, v0
	v_add_nc_u32_e32 v66, s27, v69
	v_wmma_i32_16x16x16_iu8 v[1:8], v[168:169], v[85:86], v[1:8] neg_lo:[1,1,0]
	v_wmma_i32_16x16x16_iu8 v[57:64], v[126:127], v[73:74], v[57:64] neg_lo:[1,1,0]
	s_wait_kmcnt 0x0
	s_and_b32 s1, s1, 0xffff
	v_lshl_or_b32 v0, s26, 6, v71
	v_lshl_or_b32 v68, v66, 7, v70
	v_wmma_i32_16x16x16_iu8 v[49:56], v[126:127], v[75:76], v[49:56] neg_lo:[1,1,0]
	v_wmma_i32_16x16x16_iu8 v[57:64], v[150:151], v[85:86], v[57:64] neg_lo:[1,1,0]
	s_and_b32 s5, s5, 0xffff
	s_wait_alu 0xfffe
	s_mov_b32 s7, s3
	v_mad_co_u64_u32 v[66:67], null, v68, s25, v[0:1]
	v_mad_co_u64_u32 v[67:68], null, v68, s24, v[0:1]
	v_lshlrev_b32_e32 v0, 2, v121
	v_wmma_i32_16x16x16_iu8 v[49:56], v[150:151], v[87:88], v[49:56] neg_lo:[1,1,0]
	s_lshl_b32 s8, s25, 5
	v_wmma_i32_16x16x16_iu8 v[41:48], v[128:129], v[75:76], v[41:48] neg_lo:[1,1,0]
	s_lshl_b32 s9, s24, 5
	v_lshl_or_b32 v0, v65, 7, v0
	v_wmma_i32_16x16x16_iu8 v[33:40], v[128:129], v[73:74], v[33:40] neg_lo:[1,1,0]
	v_wmma_i32_16x16x16_iu8 v[25:32], v[162:163], v[73:74], v[25:32] neg_lo:[1,1,0]
	;; [unrolled: 1-line block ×4, first 2 shown]
	v_lshl_add_u32 v0, v120, 2, v0
	ds_store_2addr_b32 v0, v57, v58 offset1:32
	ds_store_2addr_b32 v0, v59, v60 offset0:64 offset1:96
	ds_store_2addr_b32 v0, v61, v62 offset0:128 offset1:160
	;; [unrolled: 1-line block ×3, first 2 shown]
	v_lshlrev_b32_e32 v57, 7, v70
	v_lshlrev_b32_e32 v58, 12, v69
	v_lshlrev_b32_e32 v59, 2, v71
	s_wait_dscnt 0x0
	s_barrier_signal -1
	s_barrier_wait -1
	v_wmma_i32_16x16x16_iu8 v[33:40], v[152:153], v[85:86], v[33:40] neg_lo:[1,1,0]
	v_or3_b32 v57, v57, v58, v59
	ds_load_b128 v[58:61], v57
	ds_load_b128 v[62:65], v57 offset:16
	buffer_load_b64 v[68:69], v66, s[0:3], null offen
	v_wmma_i32_16x16x16_iu8 v[25:32], v[166:167], v[85:86], v[25:32] neg_lo:[1,1,0]
	v_wmma_i32_16x16x16_iu8 v[17:24], v[166:167], v[87:88], v[17:24] neg_lo:[1,1,0]
	;; [unrolled: 1-line block ×3, first 2 shown]
	s_delay_alu instid0(VALU_DEP_1) | instskip(SKIP_3) | instid1(VALU_DEP_1)
	v_wmma_i32_16x16x16_iu8 v[9:16], v[168:169], v[87:88], v[9:16] neg_lo:[1,1,0]
	s_wait_dscnt 0x1
	v_mul_lo_u32 v58, v58, s20
	s_wait_loadcnt 0x0
	v_mad_co_u64_u32 v[70:71], null, v68, s21, v[58:59]
	v_mul_lo_u32 v58, v59, s20
	v_lshrrev_b32_e32 v71, 8, v68
	s_delay_alu instid0(VALU_DEP_1) | instskip(SKIP_2) | instid1(VALU_DEP_3)
	v_mad_co_u64_u32 v[58:59], null, v71, s21, v[58:59]
	v_mul_lo_u32 v59, v60, s20
	v_lshrrev_b32_e32 v71, 16, v68
	v_lshlrev_b16 v58, 8, v58
	s_delay_alu instid0(VALU_DEP_2) | instskip(SKIP_3) | instid1(VALU_DEP_4)
	v_mad_co_u64_u32 v[59:60], null, v71, s21, v[59:60]
	v_mul_lo_u32 v60, v61, s20
	v_lshrrev_b32_e32 v61, 24, v68
	v_lshrrev_b32_e32 v68, 8, v69
	v_and_b32_e32 v59, 0xff, v59
	s_delay_alu instid0(VALU_DEP_3) | instskip(SKIP_2) | instid1(VALU_DEP_2)
	v_mad_co_u64_u32 v[60:61], null, v61, s21, v[60:61]
	s_wait_dscnt 0x0
	v_mul_lo_u32 v61, v62, s20
	v_lshlrev_b16 v60, 8, v60
	s_delay_alu instid0(VALU_DEP_2) | instskip(SKIP_1) | instid1(VALU_DEP_3)
	v_mad_co_u64_u32 v[61:62], null, v69, s21, v[61:62]
	v_mul_lo_u32 v62, v63, s20
	v_or_b32_e32 v59, v59, v60
	s_delay_alu instid0(VALU_DEP_3) | instskip(NEXT) | instid1(VALU_DEP_2)
	v_and_b32_e32 v61, 0xff, v61
	v_lshlrev_b32_e32 v59, 16, v59
	s_delay_alu instid0(VALU_DEP_4) | instskip(SKIP_2) | instid1(VALU_DEP_3)
	v_mad_co_u64_u32 v[62:63], null, v68, s21, v[62:63]
	v_mul_lo_u32 v63, v64, s20
	v_lshrrev_b32_e32 v68, 16, v69
	v_lshlrev_b16 v62, 8, v62
	s_delay_alu instid0(VALU_DEP_2) | instskip(SKIP_2) | instid1(VALU_DEP_4)
	v_mad_co_u64_u32 v[63:64], null, v68, s21, v[63:64]
	v_mul_lo_u32 v64, v65, s20
	v_lshrrev_b32_e32 v68, 24, v69
	v_or_b32_e32 v61, v61, v62
	s_delay_alu instid0(VALU_DEP_4) | instskip(NEXT) | instid1(VALU_DEP_2)
	v_and_b32_e32 v63, 0xff, v63
	v_and_b32_e32 v61, 0xffff, v61
	s_delay_alu instid0(VALU_DEP_4) | instskip(NEXT) | instid1(VALU_DEP_1)
	v_mad_co_u64_u32 v[64:65], null, v68, s21, v[64:65]
	v_lshlrev_b16 v62, 8, v64
	s_delay_alu instid0(VALU_DEP_1) | instskip(NEXT) | instid1(VALU_DEP_1)
	v_or_b32_e32 v62, v63, v62
	v_lshlrev_b32_e32 v62, 16, v62
	s_delay_alu instid0(VALU_DEP_1) | instskip(SKIP_1) | instid1(VALU_DEP_1)
	v_or_b32_e32 v61, v61, v62
	v_and_b32_e32 v62, 0xff, v70
	v_or_b32_e32 v58, v62, v58
	s_delay_alu instid0(VALU_DEP_1) | instskip(NEXT) | instid1(VALU_DEP_1)
	v_and_b32_e32 v58, 0xffff, v58
	v_or_b32_e32 v60, v58, v59
	buffer_store_b64 v[60:61], v67, s[4:7], null offen
	s_wait_dscnt 0x0
	s_barrier_signal -1
	s_barrier_wait -1
	ds_store_2addr_b32 v0, v49, v50 offset1:32
	ds_store_2addr_b32 v0, v51, v52 offset0:64 offset1:96
	ds_store_2addr_b32 v0, v53, v54 offset0:128 offset1:160
	;; [unrolled: 1-line block ×3, first 2 shown]
	s_wait_dscnt 0x0
	s_barrier_signal -1
	s_barrier_wait -1
	ds_load_b128 v[49:52], v57
	ds_load_b128 v[53:56], v57 offset:16
	buffer_load_b64 v[58:59], v66, s[0:3], null offen offset:32
	s_wait_dscnt 0x1
	v_mul_lo_u32 v49, v49, s20
	s_wait_loadcnt 0x0
	s_delay_alu instid0(VALU_DEP_1) | instskip(SKIP_2) | instid1(VALU_DEP_1)
	v_mad_co_u64_u32 v[60:61], null, v58, s21, v[49:50]
	v_mul_lo_u32 v49, v50, s20
	v_lshrrev_b32_e32 v61, 8, v58
	v_mad_co_u64_u32 v[49:50], null, v61, s21, v[49:50]
	v_mul_lo_u32 v50, v51, s20
	v_lshrrev_b32_e32 v61, 16, v58
	s_delay_alu instid0(VALU_DEP_3) | instskip(NEXT) | instid1(VALU_DEP_2)
	v_lshlrev_b16 v49, 8, v49
	v_mad_co_u64_u32 v[50:51], null, v61, s21, v[50:51]
	v_mul_lo_u32 v51, v52, s20
	v_lshrrev_b32_e32 v52, 24, v58
	v_lshrrev_b32_e32 v58, 8, v59
	s_delay_alu instid0(VALU_DEP_4) | instskip(NEXT) | instid1(VALU_DEP_3)
	v_and_b32_e32 v50, 0xff, v50
	v_mad_co_u64_u32 v[51:52], null, v52, s21, v[51:52]
	s_wait_dscnt 0x0
	v_mul_lo_u32 v52, v53, s20
	s_delay_alu instid0(VALU_DEP_2) | instskip(NEXT) | instid1(VALU_DEP_2)
	v_lshlrev_b16 v51, 8, v51
	v_mad_co_u64_u32 v[52:53], null, v59, s21, v[52:53]
	v_mul_lo_u32 v53, v54, s20
	s_delay_alu instid0(VALU_DEP_3) | instskip(NEXT) | instid1(VALU_DEP_3)
	v_or_b32_e32 v50, v50, v51
	v_and_b32_e32 v52, 0xff, v52
	s_delay_alu instid0(VALU_DEP_2) | instskip(NEXT) | instid1(VALU_DEP_4)
	v_lshlrev_b32_e32 v50, 16, v50
	v_mad_co_u64_u32 v[53:54], null, v58, s21, v[53:54]
	v_mul_lo_u32 v54, v55, s20
	v_lshrrev_b32_e32 v58, 16, v59
	s_delay_alu instid0(VALU_DEP_3) | instskip(NEXT) | instid1(VALU_DEP_2)
	v_lshlrev_b16 v53, 8, v53
	v_mad_co_u64_u32 v[54:55], null, v58, s21, v[54:55]
	v_mul_lo_u32 v55, v56, s20
	v_lshrrev_b32_e32 v58, 24, v59
	s_delay_alu instid0(VALU_DEP_4) | instskip(NEXT) | instid1(VALU_DEP_4)
	v_or_b32_e32 v52, v52, v53
	v_and_b32_e32 v54, 0xff, v54
	s_delay_alu instid0(VALU_DEP_2) | instskip(NEXT) | instid1(VALU_DEP_4)
	v_and_b32_e32 v52, 0xffff, v52
	v_mad_co_u64_u32 v[55:56], null, v58, s21, v[55:56]
	s_delay_alu instid0(VALU_DEP_1) | instskip(NEXT) | instid1(VALU_DEP_1)
	v_lshlrev_b16 v53, 8, v55
	v_or_b32_e32 v53, v54, v53
	v_add_nc_u32_e32 v54, s9, v67
	s_delay_alu instid0(VALU_DEP_2) | instskip(NEXT) | instid1(VALU_DEP_2)
	v_lshlrev_b32_e32 v53, 16, v53
	v_add_nc_u32_e32 v55, 32, v54
	s_delay_alu instid0(VALU_DEP_2) | instskip(SKIP_1) | instid1(VALU_DEP_1)
	v_or_b32_e32 v52, v52, v53
	v_and_b32_e32 v53, 0xff, v60
	v_or_b32_e32 v49, v53, v49
	v_add_nc_u32_e32 v53, s8, v66
	s_delay_alu instid0(VALU_DEP_2) | instskip(NEXT) | instid1(VALU_DEP_1)
	v_and_b32_e32 v49, 0xffff, v49
	v_or_b32_e32 v51, v49, v50
	s_delay_alu instid0(VALU_DEP_3)
	v_add_nc_u32_e32 v49, 32, v53
	buffer_store_b64 v[51:52], v67, s[4:7], null offen offset:32
	s_wait_dscnt 0x0
	s_barrier_signal -1
	s_barrier_wait -1
	ds_store_2addr_b32 v0, v41, v42 offset1:32
	ds_store_2addr_b32 v0, v43, v44 offset0:64 offset1:96
	ds_store_2addr_b32 v0, v45, v46 offset0:128 offset1:160
	;; [unrolled: 1-line block ×3, first 2 shown]
	s_wait_dscnt 0x0
	s_barrier_signal -1
	s_barrier_wait -1
	ds_load_b128 v[41:44], v57
	ds_load_b128 v[45:48], v57 offset:16
	buffer_load_b64 v[49:50], v49, s[0:3], null offen
	s_wait_dscnt 0x1
	v_mul_lo_u32 v41, v41, s20
	s_wait_loadcnt 0x0
	s_delay_alu instid0(VALU_DEP_1) | instskip(SKIP_2) | instid1(VALU_DEP_1)
	v_mad_co_u64_u32 v[51:52], null, v49, s21, v[41:42]
	v_mul_lo_u32 v41, v42, s20
	v_lshrrev_b32_e32 v52, 8, v49
	v_mad_co_u64_u32 v[41:42], null, v52, s21, v[41:42]
	v_mul_lo_u32 v42, v43, s20
	v_lshrrev_b32_e32 v52, 16, v49
	s_delay_alu instid0(VALU_DEP_3) | instskip(NEXT) | instid1(VALU_DEP_2)
	v_lshlrev_b16 v41, 8, v41
	v_mad_co_u64_u32 v[42:43], null, v52, s21, v[42:43]
	v_mul_lo_u32 v43, v44, s20
	v_lshrrev_b32_e32 v44, 24, v49
	v_lshrrev_b32_e32 v49, 8, v50
	s_delay_alu instid0(VALU_DEP_4) | instskip(NEXT) | instid1(VALU_DEP_3)
	v_and_b32_e32 v42, 0xff, v42
	v_mad_co_u64_u32 v[43:44], null, v44, s21, v[43:44]
	s_wait_dscnt 0x0
	v_mul_lo_u32 v44, v45, s20
	s_delay_alu instid0(VALU_DEP_2) | instskip(NEXT) | instid1(VALU_DEP_2)
	v_lshlrev_b16 v43, 8, v43
	v_mad_co_u64_u32 v[44:45], null, v50, s21, v[44:45]
	v_mul_lo_u32 v45, v46, s20
	s_delay_alu instid0(VALU_DEP_3) | instskip(NEXT) | instid1(VALU_DEP_3)
	v_or_b32_e32 v42, v42, v43
	v_and_b32_e32 v44, 0xff, v44
	s_delay_alu instid0(VALU_DEP_2) | instskip(NEXT) | instid1(VALU_DEP_4)
	v_lshlrev_b32_e32 v42, 16, v42
	v_mad_co_u64_u32 v[45:46], null, v49, s21, v[45:46]
	v_mul_lo_u32 v46, v47, s20
	v_lshrrev_b32_e32 v49, 16, v50
	s_delay_alu instid0(VALU_DEP_3) | instskip(NEXT) | instid1(VALU_DEP_2)
	v_lshlrev_b16 v45, 8, v45
	v_mad_co_u64_u32 v[46:47], null, v49, s21, v[46:47]
	v_mul_lo_u32 v47, v48, s20
	v_lshrrev_b32_e32 v49, 24, v50
	s_delay_alu instid0(VALU_DEP_4) | instskip(NEXT) | instid1(VALU_DEP_4)
	v_or_b32_e32 v44, v44, v45
	v_and_b32_e32 v46, 0xff, v46
	s_delay_alu instid0(VALU_DEP_2) | instskip(NEXT) | instid1(VALU_DEP_4)
	v_and_b32_e32 v44, 0xffff, v44
	v_mad_co_u64_u32 v[47:48], null, v49, s21, v[47:48]
	s_delay_alu instid0(VALU_DEP_1) | instskip(NEXT) | instid1(VALU_DEP_1)
	v_lshlrev_b16 v45, 8, v47
	v_or_b32_e32 v45, v46, v45
	s_delay_alu instid0(VALU_DEP_1) | instskip(NEXT) | instid1(VALU_DEP_1)
	v_lshlrev_b32_e32 v45, 16, v45
	v_or_b32_e32 v44, v44, v45
	v_and_b32_e32 v45, 0xff, v51
	s_delay_alu instid0(VALU_DEP_1) | instskip(NEXT) | instid1(VALU_DEP_1)
	v_or_b32_e32 v41, v45, v41
	v_and_b32_e32 v41, 0xffff, v41
	s_delay_alu instid0(VALU_DEP_1)
	v_or_b32_e32 v43, v41, v42
	buffer_store_b64 v[43:44], v55, s[4:7], null offen
	s_wait_dscnt 0x0
	s_barrier_signal -1
	s_barrier_wait -1
	ds_store_2addr_b32 v0, v33, v34 offset1:32
	ds_store_2addr_b32 v0, v35, v36 offset0:64 offset1:96
	ds_store_2addr_b32 v0, v37, v38 offset0:128 offset1:160
	;; [unrolled: 1-line block ×3, first 2 shown]
	s_wait_dscnt 0x0
	s_barrier_signal -1
	s_barrier_wait -1
	ds_load_b128 v[33:36], v57
	ds_load_b128 v[37:40], v57 offset:16
	buffer_load_b64 v[41:42], v53, s[0:3], null offen
	s_wait_dscnt 0x1
	v_mul_lo_u32 v33, v33, s20
	s_wait_loadcnt 0x0
	s_delay_alu instid0(VALU_DEP_1) | instskip(SKIP_2) | instid1(VALU_DEP_1)
	v_mad_co_u64_u32 v[43:44], null, v41, s21, v[33:34]
	v_mul_lo_u32 v33, v34, s20
	v_lshrrev_b32_e32 v44, 8, v41
	v_mad_co_u64_u32 v[33:34], null, v44, s21, v[33:34]
	v_mul_lo_u32 v34, v35, s20
	v_lshrrev_b32_e32 v44, 16, v41
	s_delay_alu instid0(VALU_DEP_3) | instskip(NEXT) | instid1(VALU_DEP_2)
	v_lshlrev_b16 v33, 8, v33
	v_mad_co_u64_u32 v[34:35], null, v44, s21, v[34:35]
	v_mul_lo_u32 v35, v36, s20
	v_lshrrev_b32_e32 v36, 24, v41
	v_lshrrev_b32_e32 v41, 8, v42
	s_delay_alu instid0(VALU_DEP_4) | instskip(NEXT) | instid1(VALU_DEP_3)
	v_and_b32_e32 v34, 0xff, v34
	v_mad_co_u64_u32 v[35:36], null, v36, s21, v[35:36]
	s_wait_dscnt 0x0
	v_mul_lo_u32 v36, v37, s20
	s_delay_alu instid0(VALU_DEP_2) | instskip(NEXT) | instid1(VALU_DEP_2)
	v_lshlrev_b16 v35, 8, v35
	v_mad_co_u64_u32 v[36:37], null, v42, s21, v[36:37]
	v_mul_lo_u32 v37, v38, s20
	s_delay_alu instid0(VALU_DEP_3) | instskip(NEXT) | instid1(VALU_DEP_3)
	v_or_b32_e32 v34, v34, v35
	v_and_b32_e32 v36, 0xff, v36
	s_delay_alu instid0(VALU_DEP_2) | instskip(NEXT) | instid1(VALU_DEP_4)
	v_lshlrev_b32_e32 v34, 16, v34
	v_mad_co_u64_u32 v[37:38], null, v41, s21, v[37:38]
	v_mul_lo_u32 v38, v39, s20
	v_lshrrev_b32_e32 v41, 16, v42
	s_delay_alu instid0(VALU_DEP_3) | instskip(NEXT) | instid1(VALU_DEP_2)
	v_lshlrev_b16 v37, 8, v37
	v_mad_co_u64_u32 v[38:39], null, v41, s21, v[38:39]
	v_mul_lo_u32 v39, v40, s20
	v_lshrrev_b32_e32 v41, 24, v42
	s_delay_alu instid0(VALU_DEP_4) | instskip(NEXT) | instid1(VALU_DEP_4)
	v_or_b32_e32 v36, v36, v37
	v_and_b32_e32 v38, 0xff, v38
	s_delay_alu instid0(VALU_DEP_2) | instskip(NEXT) | instid1(VALU_DEP_4)
	v_and_b32_e32 v36, 0xffff, v36
	v_mad_co_u64_u32 v[39:40], null, v41, s21, v[39:40]
	s_delay_alu instid0(VALU_DEP_1) | instskip(NEXT) | instid1(VALU_DEP_1)
	v_lshlrev_b16 v37, 8, v39
	v_or_b32_e32 v37, v38, v37
	v_add_nc_u32_e32 v38, s9, v54
	s_delay_alu instid0(VALU_DEP_2) | instskip(NEXT) | instid1(VALU_DEP_1)
	v_lshlrev_b32_e32 v37, 16, v37
	v_or_b32_e32 v36, v36, v37
	v_and_b32_e32 v37, 0xff, v43
	s_delay_alu instid0(VALU_DEP_1) | instskip(SKIP_1) | instid1(VALU_DEP_2)
	v_or_b32_e32 v33, v37, v33
	v_add_nc_u32_e32 v37, s8, v53
	v_and_b32_e32 v33, 0xffff, v33
	s_delay_alu instid0(VALU_DEP_1)
	v_or_b32_e32 v35, v33, v34
	buffer_store_b64 v[35:36], v54, s[4:7], null offen
	s_wait_dscnt 0x0
	s_barrier_signal -1
	s_barrier_wait -1
	ds_store_2addr_b32 v0, v25, v26 offset1:32
	ds_store_2addr_b32 v0, v27, v28 offset0:64 offset1:96
	ds_store_2addr_b32 v0, v29, v30 offset0:128 offset1:160
	;; [unrolled: 1-line block ×3, first 2 shown]
	s_wait_dscnt 0x0
	s_barrier_signal -1
	s_barrier_wait -1
	ds_load_b128 v[25:28], v57
	ds_load_b128 v[29:32], v57 offset:16
	buffer_load_b64 v[33:34], v37, s[0:3], null offen
	s_wait_dscnt 0x1
	v_mul_lo_u32 v25, v25, s20
	s_wait_loadcnt 0x0
	s_delay_alu instid0(VALU_DEP_1) | instskip(SKIP_2) | instid1(VALU_DEP_1)
	v_mad_co_u64_u32 v[35:36], null, v33, s21, v[25:26]
	v_mul_lo_u32 v25, v26, s20
	v_lshrrev_b32_e32 v36, 8, v33
	v_mad_co_u64_u32 v[25:26], null, v36, s21, v[25:26]
	v_mul_lo_u32 v26, v27, s20
	v_lshrrev_b32_e32 v36, 16, v33
	s_delay_alu instid0(VALU_DEP_3) | instskip(NEXT) | instid1(VALU_DEP_2)
	v_lshlrev_b16 v25, 8, v25
	v_mad_co_u64_u32 v[26:27], null, v36, s21, v[26:27]
	v_mul_lo_u32 v27, v28, s20
	v_lshrrev_b32_e32 v28, 24, v33
	v_lshrrev_b32_e32 v33, 8, v34
	s_delay_alu instid0(VALU_DEP_4) | instskip(NEXT) | instid1(VALU_DEP_3)
	v_and_b32_e32 v26, 0xff, v26
	v_mad_co_u64_u32 v[27:28], null, v28, s21, v[27:28]
	s_wait_dscnt 0x0
	v_mul_lo_u32 v28, v29, s20
	s_delay_alu instid0(VALU_DEP_2) | instskip(NEXT) | instid1(VALU_DEP_2)
	v_lshlrev_b16 v27, 8, v27
	v_mad_co_u64_u32 v[28:29], null, v34, s21, v[28:29]
	v_mul_lo_u32 v29, v30, s20
	s_delay_alu instid0(VALU_DEP_3) | instskip(NEXT) | instid1(VALU_DEP_3)
	v_or_b32_e32 v26, v26, v27
	v_and_b32_e32 v28, 0xff, v28
	s_delay_alu instid0(VALU_DEP_2) | instskip(NEXT) | instid1(VALU_DEP_4)
	v_lshlrev_b32_e32 v26, 16, v26
	v_mad_co_u64_u32 v[29:30], null, v33, s21, v[29:30]
	v_mul_lo_u32 v30, v31, s20
	v_lshrrev_b32_e32 v33, 16, v34
	s_delay_alu instid0(VALU_DEP_3) | instskip(NEXT) | instid1(VALU_DEP_2)
	v_lshlrev_b16 v29, 8, v29
	v_mad_co_u64_u32 v[30:31], null, v33, s21, v[30:31]
	v_mul_lo_u32 v31, v32, s20
	v_lshrrev_b32_e32 v33, 24, v34
	s_delay_alu instid0(VALU_DEP_4) | instskip(NEXT) | instid1(VALU_DEP_4)
	v_or_b32_e32 v28, v28, v29
	v_and_b32_e32 v30, 0xff, v30
	s_delay_alu instid0(VALU_DEP_2) | instskip(NEXT) | instid1(VALU_DEP_4)
	v_and_b32_e32 v28, 0xffff, v28
	v_mad_co_u64_u32 v[31:32], null, v33, s21, v[31:32]
	s_delay_alu instid0(VALU_DEP_1) | instskip(NEXT) | instid1(VALU_DEP_1)
	v_lshlrev_b16 v29, 8, v31
	v_or_b32_e32 v29, v30, v29
	s_delay_alu instid0(VALU_DEP_1) | instskip(NEXT) | instid1(VALU_DEP_1)
	v_lshlrev_b32_e32 v29, 16, v29
	v_or_b32_e32 v28, v28, v29
	v_and_b32_e32 v29, 0xff, v35
	s_delay_alu instid0(VALU_DEP_1) | instskip(NEXT) | instid1(VALU_DEP_1)
	v_or_b32_e32 v25, v29, v25
	v_and_b32_e32 v25, 0xffff, v25
	s_delay_alu instid0(VALU_DEP_1)
	v_or_b32_e32 v27, v25, v26
	buffer_store_b64 v[27:28], v38, s[4:7], null offen
	s_wait_dscnt 0x0
	s_barrier_signal -1
	s_barrier_wait -1
	ds_store_2addr_b32 v0, v17, v18 offset1:32
	ds_store_2addr_b32 v0, v19, v20 offset0:64 offset1:96
	ds_store_2addr_b32 v0, v21, v22 offset0:128 offset1:160
	;; [unrolled: 1-line block ×3, first 2 shown]
	s_wait_dscnt 0x0
	s_barrier_signal -1
	s_barrier_wait -1
	ds_load_b128 v[17:20], v57
	ds_load_b128 v[21:24], v57 offset:16
	buffer_load_b64 v[25:26], v37, s[0:3], null offen offset:32
	s_wait_dscnt 0x1
	v_mul_lo_u32 v17, v17, s20
	s_wait_loadcnt 0x0
	s_delay_alu instid0(VALU_DEP_1) | instskip(SKIP_2) | instid1(VALU_DEP_1)
	v_mad_co_u64_u32 v[27:28], null, v25, s21, v[17:18]
	v_mul_lo_u32 v17, v18, s20
	v_lshrrev_b32_e32 v28, 8, v25
	v_mad_co_u64_u32 v[17:18], null, v28, s21, v[17:18]
	v_mul_lo_u32 v18, v19, s20
	v_lshrrev_b32_e32 v28, 16, v25
	s_delay_alu instid0(VALU_DEP_3) | instskip(NEXT) | instid1(VALU_DEP_2)
	v_lshlrev_b16 v17, 8, v17
	v_mad_co_u64_u32 v[18:19], null, v28, s21, v[18:19]
	v_mul_lo_u32 v19, v20, s20
	v_lshrrev_b32_e32 v20, 24, v25
	v_lshrrev_b32_e32 v25, 8, v26
	s_delay_alu instid0(VALU_DEP_4) | instskip(NEXT) | instid1(VALU_DEP_3)
	v_and_b32_e32 v18, 0xff, v18
	v_mad_co_u64_u32 v[19:20], null, v20, s21, v[19:20]
	s_wait_dscnt 0x0
	v_mul_lo_u32 v20, v21, s20
	s_delay_alu instid0(VALU_DEP_2) | instskip(NEXT) | instid1(VALU_DEP_2)
	v_lshlrev_b16 v19, 8, v19
	v_mad_co_u64_u32 v[20:21], null, v26, s21, v[20:21]
	v_mul_lo_u32 v21, v22, s20
	s_delay_alu instid0(VALU_DEP_3) | instskip(NEXT) | instid1(VALU_DEP_3)
	v_or_b32_e32 v18, v18, v19
	v_and_b32_e32 v20, 0xff, v20
	s_delay_alu instid0(VALU_DEP_2) | instskip(NEXT) | instid1(VALU_DEP_4)
	v_lshlrev_b32_e32 v18, 16, v18
	v_mad_co_u64_u32 v[21:22], null, v25, s21, v[21:22]
	v_mul_lo_u32 v22, v23, s20
	v_lshrrev_b32_e32 v25, 16, v26
	s_delay_alu instid0(VALU_DEP_3) | instskip(NEXT) | instid1(VALU_DEP_2)
	v_lshlrev_b16 v21, 8, v21
	v_mad_co_u64_u32 v[22:23], null, v25, s21, v[22:23]
	v_mul_lo_u32 v23, v24, s20
	v_lshrrev_b32_e32 v25, 24, v26
	s_delay_alu instid0(VALU_DEP_4) | instskip(NEXT) | instid1(VALU_DEP_4)
	v_or_b32_e32 v20, v20, v21
	v_and_b32_e32 v22, 0xff, v22
	s_delay_alu instid0(VALU_DEP_2) | instskip(NEXT) | instid1(VALU_DEP_4)
	v_and_b32_e32 v20, 0xffff, v20
	v_mad_co_u64_u32 v[23:24], null, v25, s21, v[23:24]
	s_delay_alu instid0(VALU_DEP_1) | instskip(NEXT) | instid1(VALU_DEP_1)
	v_lshlrev_b16 v21, 8, v23
	v_or_b32_e32 v21, v22, v21
	v_add_nc_u32_e32 v22, s9, v38
	s_delay_alu instid0(VALU_DEP_2) | instskip(NEXT) | instid1(VALU_DEP_2)
	v_lshlrev_b32_e32 v21, 16, v21
	v_add_nc_u32_e32 v23, 32, v22
	s_delay_alu instid0(VALU_DEP_2) | instskip(SKIP_1) | instid1(VALU_DEP_1)
	v_or_b32_e32 v20, v20, v21
	v_and_b32_e32 v21, 0xff, v27
	v_or_b32_e32 v17, v21, v17
	v_add_nc_u32_e32 v21, s8, v37
	s_delay_alu instid0(VALU_DEP_2) | instskip(NEXT) | instid1(VALU_DEP_1)
	v_and_b32_e32 v17, 0xffff, v17
	v_or_b32_e32 v19, v17, v18
	s_delay_alu instid0(VALU_DEP_3)
	v_add_nc_u32_e32 v17, 32, v21
	buffer_store_b64 v[19:20], v38, s[4:7], null offen offset:32
	s_wait_dscnt 0x0
	s_barrier_signal -1
	s_barrier_wait -1
	ds_store_2addr_b32 v0, v9, v10 offset1:32
	ds_store_2addr_b32 v0, v11, v12 offset0:64 offset1:96
	ds_store_2addr_b32 v0, v13, v14 offset0:128 offset1:160
	;; [unrolled: 1-line block ×3, first 2 shown]
	s_wait_dscnt 0x0
	s_barrier_signal -1
	s_barrier_wait -1
	ds_load_b128 v[9:12], v57
	ds_load_b128 v[13:16], v57 offset:16
	buffer_load_b64 v[17:18], v17, s[0:3], null offen
	s_wait_dscnt 0x1
	v_mul_lo_u32 v9, v9, s20
	s_wait_loadcnt 0x0
	s_delay_alu instid0(VALU_DEP_1) | instskip(SKIP_2) | instid1(VALU_DEP_1)
	v_mad_co_u64_u32 v[19:20], null, v17, s21, v[9:10]
	v_mul_lo_u32 v9, v10, s20
	v_lshrrev_b32_e32 v20, 8, v17
	v_mad_co_u64_u32 v[9:10], null, v20, s21, v[9:10]
	v_mul_lo_u32 v10, v11, s20
	v_lshrrev_b32_e32 v20, 16, v17
	s_delay_alu instid0(VALU_DEP_3) | instskip(NEXT) | instid1(VALU_DEP_2)
	v_lshlrev_b16 v9, 8, v9
	v_mad_co_u64_u32 v[10:11], null, v20, s21, v[10:11]
	v_mul_lo_u32 v11, v12, s20
	v_lshrrev_b32_e32 v12, 24, v17
	v_lshrrev_b32_e32 v17, 8, v18
	s_delay_alu instid0(VALU_DEP_4) | instskip(NEXT) | instid1(VALU_DEP_3)
	v_and_b32_e32 v10, 0xff, v10
	v_mad_co_u64_u32 v[11:12], null, v12, s21, v[11:12]
	s_wait_dscnt 0x0
	v_mul_lo_u32 v12, v13, s20
	s_delay_alu instid0(VALU_DEP_2) | instskip(NEXT) | instid1(VALU_DEP_2)
	v_lshlrev_b16 v11, 8, v11
	v_mad_co_u64_u32 v[12:13], null, v18, s21, v[12:13]
	v_mul_lo_u32 v13, v14, s20
	s_delay_alu instid0(VALU_DEP_3) | instskip(NEXT) | instid1(VALU_DEP_3)
	v_or_b32_e32 v10, v10, v11
	v_and_b32_e32 v12, 0xff, v12
	s_delay_alu instid0(VALU_DEP_2) | instskip(NEXT) | instid1(VALU_DEP_4)
	v_lshlrev_b32_e32 v10, 16, v10
	v_mad_co_u64_u32 v[13:14], null, v17, s21, v[13:14]
	v_mul_lo_u32 v14, v15, s20
	v_lshrrev_b32_e32 v17, 16, v18
	s_delay_alu instid0(VALU_DEP_3) | instskip(NEXT) | instid1(VALU_DEP_2)
	v_lshlrev_b16 v13, 8, v13
	v_mad_co_u64_u32 v[14:15], null, v17, s21, v[14:15]
	v_mul_lo_u32 v15, v16, s20
	v_lshrrev_b32_e32 v17, 24, v18
	s_delay_alu instid0(VALU_DEP_4) | instskip(NEXT) | instid1(VALU_DEP_4)
	v_or_b32_e32 v12, v12, v13
	v_and_b32_e32 v14, 0xff, v14
	s_delay_alu instid0(VALU_DEP_2) | instskip(NEXT) | instid1(VALU_DEP_4)
	v_and_b32_e32 v12, 0xffff, v12
	v_mad_co_u64_u32 v[15:16], null, v17, s21, v[15:16]
	s_delay_alu instid0(VALU_DEP_1) | instskip(NEXT) | instid1(VALU_DEP_1)
	v_lshlrev_b16 v13, 8, v15
	v_or_b32_e32 v13, v14, v13
	s_delay_alu instid0(VALU_DEP_1) | instskip(NEXT) | instid1(VALU_DEP_1)
	v_lshlrev_b32_e32 v13, 16, v13
	v_or_b32_e32 v12, v12, v13
	v_and_b32_e32 v13, 0xff, v19
	s_delay_alu instid0(VALU_DEP_1) | instskip(NEXT) | instid1(VALU_DEP_1)
	v_or_b32_e32 v9, v13, v9
	v_and_b32_e32 v9, 0xffff, v9
	s_delay_alu instid0(VALU_DEP_1)
	v_or_b32_e32 v11, v9, v10
	buffer_store_b64 v[11:12], v23, s[4:7], null offen
	s_wait_dscnt 0x0
	s_barrier_signal -1
	s_barrier_wait -1
	ds_store_2addr_b32 v0, v1, v2 offset1:32
	ds_store_2addr_b32 v0, v3, v4 offset0:64 offset1:96
	ds_store_2addr_b32 v0, v5, v6 offset0:128 offset1:160
	ds_store_2addr_b32 v0, v7, v8 offset0:192 offset1:224
	s_wait_dscnt 0x0
	s_barrier_signal -1
	s_barrier_wait -1
	ds_load_b128 v[0:3], v57
	ds_load_b128 v[4:7], v57 offset:16
	buffer_load_b64 v[8:9], v21, s[0:3], null offen
	s_wait_dscnt 0x1
	v_mul_lo_u32 v0, v0, s20
	s_wait_loadcnt 0x0
	s_delay_alu instid0(VALU_DEP_1) | instskip(SKIP_2) | instid1(VALU_DEP_1)
	v_mad_co_u64_u32 v[10:11], null, v8, s21, v[0:1]
	v_mul_lo_u32 v0, v1, s20
	v_lshrrev_b32_e32 v11, 8, v8
	v_mad_co_u64_u32 v[0:1], null, v11, s21, v[0:1]
	v_mul_lo_u32 v1, v2, s20
	v_lshrrev_b32_e32 v11, 16, v8
	s_delay_alu instid0(VALU_DEP_3) | instskip(NEXT) | instid1(VALU_DEP_2)
	v_lshlrev_b16 v0, 8, v0
	v_mad_co_u64_u32 v[1:2], null, v11, s21, v[1:2]
	v_mul_lo_u32 v2, v3, s20
	v_lshrrev_b32_e32 v3, 24, v8
	v_lshrrev_b32_e32 v8, 8, v9
	s_delay_alu instid0(VALU_DEP_4) | instskip(NEXT) | instid1(VALU_DEP_3)
	v_and_b32_e32 v1, 0xff, v1
	v_mad_co_u64_u32 v[2:3], null, v3, s21, v[2:3]
	s_wait_dscnt 0x0
	v_mul_lo_u32 v3, v4, s20
	s_delay_alu instid0(VALU_DEP_2) | instskip(NEXT) | instid1(VALU_DEP_2)
	v_lshlrev_b16 v2, 8, v2
	v_mad_co_u64_u32 v[3:4], null, v9, s21, v[3:4]
	v_mul_lo_u32 v4, v5, s20
	s_delay_alu instid0(VALU_DEP_3) | instskip(NEXT) | instid1(VALU_DEP_3)
	v_or_b32_e32 v1, v1, v2
	v_and_b32_e32 v3, 0xff, v3
	s_delay_alu instid0(VALU_DEP_2) | instskip(NEXT) | instid1(VALU_DEP_4)
	v_lshlrev_b32_e32 v1, 16, v1
	v_mad_co_u64_u32 v[4:5], null, v8, s21, v[4:5]
	v_mul_lo_u32 v5, v6, s20
	v_lshrrev_b32_e32 v8, 16, v9
	s_delay_alu instid0(VALU_DEP_3) | instskip(NEXT) | instid1(VALU_DEP_2)
	v_lshlrev_b16 v4, 8, v4
	v_mad_co_u64_u32 v[5:6], null, v8, s21, v[5:6]
	v_mul_lo_u32 v6, v7, s20
	v_lshrrev_b32_e32 v8, 24, v9
	s_delay_alu instid0(VALU_DEP_4) | instskip(NEXT) | instid1(VALU_DEP_4)
	v_or_b32_e32 v3, v3, v4
	v_and_b32_e32 v5, 0xff, v5
	s_delay_alu instid0(VALU_DEP_2) | instskip(NEXT) | instid1(VALU_DEP_4)
	v_and_b32_e32 v3, 0xffff, v3
	v_mad_co_u64_u32 v[6:7], null, v8, s21, v[6:7]
	s_delay_alu instid0(VALU_DEP_1) | instskip(NEXT) | instid1(VALU_DEP_1)
	v_lshlrev_b16 v4, 8, v6
	v_or_b32_e32 v4, v5, v4
	s_delay_alu instid0(VALU_DEP_1) | instskip(NEXT) | instid1(VALU_DEP_1)
	v_lshlrev_b32_e32 v4, 16, v4
	v_or_b32_e32 v3, v3, v4
	v_and_b32_e32 v4, 0xff, v10
	s_delay_alu instid0(VALU_DEP_1) | instskip(NEXT) | instid1(VALU_DEP_1)
	v_or_b32_e32 v0, v4, v0
	v_and_b32_e32 v0, 0xffff, v0
	s_delay_alu instid0(VALU_DEP_1)
	v_or_b32_e32 v2, v0, v1
	buffer_store_b64 v[2:3], v22, s[4:7], null offen
	s_nop 0
	s_sendmsg sendmsg(MSG_DEALLOC_VGPRS)
	s_endpgm
	.section	.rodata,"a",@progbits
	.p2align	6, 0x0
	.amdhsa_kernel _ZN2ck36kernel_gemm_mupltipe_d_wmma_cshuffleINS_26GridwiseGemmMultipleD_WmmaIaaiiNS_5TupleIJaEEEaNS_16TensorDescriptorINS2_IJNS_5EmbedINS2_IJiiEEENS2_IJiNS_17integral_constantIiLi1EEEEEELb0EEENS_11PassThroughIiEESC_NS_7UnMergeINS2_IJiNS7_IiLi8EEEEEELb0EEESC_EEENS2_IJNS_8SequenceIJLi0EEEENSI_IJLi1EEEENSI_IJLi2EEEENSI_IJLi4EEEENSI_IJLi3EEEEEEENS2_IJNSI_IJLi1ELi2EEEESN_SM_NSI_IJLi5ELi6EEEENSI_IJLi7EEEEEEENSI_IJLi5ELi7ELi6EEEElEESU_NS2_IJNS4_INS2_IJSA_SC_SC_EEENS2_IJSJ_SK_SL_EEENS2_IJSP_SN_SM_EEENSI_IJLi3ELi4EEEElEEEEESZ_NS_16tensor_operation12element_wise11PassThroughES13_12AlphaBetaAddLNS_25InMemoryDataOperationEnumE0ELi128ELi64ELi64ELi16ELi16ELi8ELi4ELi2ELi128ENSI_IJLi4ELi32ELi1EEEENSI_IJLi1ELi0ELi2EEEES17_Li2ELi8ELi8ELb0ELb1ELb1ES16_S17_S17_Li2ELi8ELi8ELb0ELb1ELb1ELi1ELi1ENSI_IJLi1ELi32ELi1ELi4EEEELi8ELi2ELNS_13LoopSchedulerE0ELNS_15PipelineVersionE0EEEaaNS2_IJPKaEEEaSU_SU_NS2_IJNS4_INS2_IJSA_SC_SC_NSD_INS2_IJiNS7_IiLi128EEEEEELb0EEENSD_INS2_IJiNS7_IiLi64EEEEEELb0EEEEEENS2_IJSJ_SK_SL_SN_SM_EEENS2_IJSP_SN_SM_SQ_NSI_IJLi7ELi8EEEEEEENSI_IJLi5ELi6ELi7ELi8EEEElEEEEES1Q_S13_S13_S14_NS_31BlockToCTileMap_M00_N0_M01AdaptILi128ELi64ESZ_iEELb1EEEvPKT0_PKT1_T2_PT3_T4_T5_T6_T7_T8_T9_T10_T11_
		.amdhsa_group_segment_fixed_size 12400
		.amdhsa_private_segment_fixed_size 0
		.amdhsa_kernarg_size 296
		.amdhsa_user_sgpr_count 2
		.amdhsa_user_sgpr_dispatch_ptr 0
		.amdhsa_user_sgpr_queue_ptr 0
		.amdhsa_user_sgpr_kernarg_segment_ptr 1
		.amdhsa_user_sgpr_dispatch_id 0
		.amdhsa_user_sgpr_private_segment_size 0
		.amdhsa_wavefront_size32 1
		.amdhsa_uses_dynamic_stack 0
		.amdhsa_enable_private_segment 0
		.amdhsa_system_sgpr_workgroup_id_x 1
		.amdhsa_system_sgpr_workgroup_id_y 0
		.amdhsa_system_sgpr_workgroup_id_z 0
		.amdhsa_system_sgpr_workgroup_info 0
		.amdhsa_system_vgpr_workitem_id 0
		.amdhsa_next_free_vgpr 170
		.amdhsa_next_free_sgpr 30
		.amdhsa_reserve_vcc 0
		.amdhsa_float_round_mode_32 0
		.amdhsa_float_round_mode_16_64 0
		.amdhsa_float_denorm_mode_32 3
		.amdhsa_float_denorm_mode_16_64 3
		.amdhsa_fp16_overflow 0
		.amdhsa_workgroup_processor_mode 1
		.amdhsa_memory_ordered 1
		.amdhsa_forward_progress 1
		.amdhsa_inst_pref_size 61
		.amdhsa_round_robin_scheduling 0
		.amdhsa_exception_fp_ieee_invalid_op 0
		.amdhsa_exception_fp_denorm_src 0
		.amdhsa_exception_fp_ieee_div_zero 0
		.amdhsa_exception_fp_ieee_overflow 0
		.amdhsa_exception_fp_ieee_underflow 0
		.amdhsa_exception_fp_ieee_inexact 0
		.amdhsa_exception_int_div_zero 0
	.end_amdhsa_kernel
	.section	.text._ZN2ck36kernel_gemm_mupltipe_d_wmma_cshuffleINS_26GridwiseGemmMultipleD_WmmaIaaiiNS_5TupleIJaEEEaNS_16TensorDescriptorINS2_IJNS_5EmbedINS2_IJiiEEENS2_IJiNS_17integral_constantIiLi1EEEEEELb0EEENS_11PassThroughIiEESC_NS_7UnMergeINS2_IJiNS7_IiLi8EEEEEELb0EEESC_EEENS2_IJNS_8SequenceIJLi0EEEENSI_IJLi1EEEENSI_IJLi2EEEENSI_IJLi4EEEENSI_IJLi3EEEEEEENS2_IJNSI_IJLi1ELi2EEEESN_SM_NSI_IJLi5ELi6EEEENSI_IJLi7EEEEEEENSI_IJLi5ELi7ELi6EEEElEESU_NS2_IJNS4_INS2_IJSA_SC_SC_EEENS2_IJSJ_SK_SL_EEENS2_IJSP_SN_SM_EEENSI_IJLi3ELi4EEEElEEEEESZ_NS_16tensor_operation12element_wise11PassThroughES13_12AlphaBetaAddLNS_25InMemoryDataOperationEnumE0ELi128ELi64ELi64ELi16ELi16ELi8ELi4ELi2ELi128ENSI_IJLi4ELi32ELi1EEEENSI_IJLi1ELi0ELi2EEEES17_Li2ELi8ELi8ELb0ELb1ELb1ES16_S17_S17_Li2ELi8ELi8ELb0ELb1ELb1ELi1ELi1ENSI_IJLi1ELi32ELi1ELi4EEEELi8ELi2ELNS_13LoopSchedulerE0ELNS_15PipelineVersionE0EEEaaNS2_IJPKaEEEaSU_SU_NS2_IJNS4_INS2_IJSA_SC_SC_NSD_INS2_IJiNS7_IiLi128EEEEEELb0EEENSD_INS2_IJiNS7_IiLi64EEEEEELb0EEEEEENS2_IJSJ_SK_SL_SN_SM_EEENS2_IJSP_SN_SM_SQ_NSI_IJLi7ELi8EEEEEEENSI_IJLi5ELi6ELi7ELi8EEEElEEEEES1Q_S13_S13_S14_NS_31BlockToCTileMap_M00_N0_M01AdaptILi128ELi64ESZ_iEELb1EEEvPKT0_PKT1_T2_PT3_T4_T5_T6_T7_T8_T9_T10_T11_,"axG",@progbits,_ZN2ck36kernel_gemm_mupltipe_d_wmma_cshuffleINS_26GridwiseGemmMultipleD_WmmaIaaiiNS_5TupleIJaEEEaNS_16TensorDescriptorINS2_IJNS_5EmbedINS2_IJiiEEENS2_IJiNS_17integral_constantIiLi1EEEEEELb0EEENS_11PassThroughIiEESC_NS_7UnMergeINS2_IJiNS7_IiLi8EEEEEELb0EEESC_EEENS2_IJNS_8SequenceIJLi0EEEENSI_IJLi1EEEENSI_IJLi2EEEENSI_IJLi4EEEENSI_IJLi3EEEEEEENS2_IJNSI_IJLi1ELi2EEEESN_SM_NSI_IJLi5ELi6EEEENSI_IJLi7EEEEEEENSI_IJLi5ELi7ELi6EEEElEESU_NS2_IJNS4_INS2_IJSA_SC_SC_EEENS2_IJSJ_SK_SL_EEENS2_IJSP_SN_SM_EEENSI_IJLi3ELi4EEEElEEEEESZ_NS_16tensor_operation12element_wise11PassThroughES13_12AlphaBetaAddLNS_25InMemoryDataOperationEnumE0ELi128ELi64ELi64ELi16ELi16ELi8ELi4ELi2ELi128ENSI_IJLi4ELi32ELi1EEEENSI_IJLi1ELi0ELi2EEEES17_Li2ELi8ELi8ELb0ELb1ELb1ES16_S17_S17_Li2ELi8ELi8ELb0ELb1ELb1ELi1ELi1ENSI_IJLi1ELi32ELi1ELi4EEEELi8ELi2ELNS_13LoopSchedulerE0ELNS_15PipelineVersionE0EEEaaNS2_IJPKaEEEaSU_SU_NS2_IJNS4_INS2_IJSA_SC_SC_NSD_INS2_IJiNS7_IiLi128EEEEEELb0EEENSD_INS2_IJiNS7_IiLi64EEEEEELb0EEEEEENS2_IJSJ_SK_SL_SN_SM_EEENS2_IJSP_SN_SM_SQ_NSI_IJLi7ELi8EEEEEEENSI_IJLi5ELi6ELi7ELi8EEEElEEEEES1Q_S13_S13_S14_NS_31BlockToCTileMap_M00_N0_M01AdaptILi128ELi64ESZ_iEELb1EEEvPKT0_PKT1_T2_PT3_T4_T5_T6_T7_T8_T9_T10_T11_,comdat
.Lfunc_end1:
	.size	_ZN2ck36kernel_gemm_mupltipe_d_wmma_cshuffleINS_26GridwiseGemmMultipleD_WmmaIaaiiNS_5TupleIJaEEEaNS_16TensorDescriptorINS2_IJNS_5EmbedINS2_IJiiEEENS2_IJiNS_17integral_constantIiLi1EEEEEELb0EEENS_11PassThroughIiEESC_NS_7UnMergeINS2_IJiNS7_IiLi8EEEEEELb0EEESC_EEENS2_IJNS_8SequenceIJLi0EEEENSI_IJLi1EEEENSI_IJLi2EEEENSI_IJLi4EEEENSI_IJLi3EEEEEEENS2_IJNSI_IJLi1ELi2EEEESN_SM_NSI_IJLi5ELi6EEEENSI_IJLi7EEEEEEENSI_IJLi5ELi7ELi6EEEElEESU_NS2_IJNS4_INS2_IJSA_SC_SC_EEENS2_IJSJ_SK_SL_EEENS2_IJSP_SN_SM_EEENSI_IJLi3ELi4EEEElEEEEESZ_NS_16tensor_operation12element_wise11PassThroughES13_12AlphaBetaAddLNS_25InMemoryDataOperationEnumE0ELi128ELi64ELi64ELi16ELi16ELi8ELi4ELi2ELi128ENSI_IJLi4ELi32ELi1EEEENSI_IJLi1ELi0ELi2EEEES17_Li2ELi8ELi8ELb0ELb1ELb1ES16_S17_S17_Li2ELi8ELi8ELb0ELb1ELb1ELi1ELi1ENSI_IJLi1ELi32ELi1ELi4EEEELi8ELi2ELNS_13LoopSchedulerE0ELNS_15PipelineVersionE0EEEaaNS2_IJPKaEEEaSU_SU_NS2_IJNS4_INS2_IJSA_SC_SC_NSD_INS2_IJiNS7_IiLi128EEEEEELb0EEENSD_INS2_IJiNS7_IiLi64EEEEEELb0EEEEEENS2_IJSJ_SK_SL_SN_SM_EEENS2_IJSP_SN_SM_SQ_NSI_IJLi7ELi8EEEEEEENSI_IJLi5ELi6ELi7ELi8EEEElEEEEES1Q_S13_S13_S14_NS_31BlockToCTileMap_M00_N0_M01AdaptILi128ELi64ESZ_iEELb1EEEvPKT0_PKT1_T2_PT3_T4_T5_T6_T7_T8_T9_T10_T11_, .Lfunc_end1-_ZN2ck36kernel_gemm_mupltipe_d_wmma_cshuffleINS_26GridwiseGemmMultipleD_WmmaIaaiiNS_5TupleIJaEEEaNS_16TensorDescriptorINS2_IJNS_5EmbedINS2_IJiiEEENS2_IJiNS_17integral_constantIiLi1EEEEEELb0EEENS_11PassThroughIiEESC_NS_7UnMergeINS2_IJiNS7_IiLi8EEEEEELb0EEESC_EEENS2_IJNS_8SequenceIJLi0EEEENSI_IJLi1EEEENSI_IJLi2EEEENSI_IJLi4EEEENSI_IJLi3EEEEEEENS2_IJNSI_IJLi1ELi2EEEESN_SM_NSI_IJLi5ELi6EEEENSI_IJLi7EEEEEEENSI_IJLi5ELi7ELi6EEEElEESU_NS2_IJNS4_INS2_IJSA_SC_SC_EEENS2_IJSJ_SK_SL_EEENS2_IJSP_SN_SM_EEENSI_IJLi3ELi4EEEElEEEEESZ_NS_16tensor_operation12element_wise11PassThroughES13_12AlphaBetaAddLNS_25InMemoryDataOperationEnumE0ELi128ELi64ELi64ELi16ELi16ELi8ELi4ELi2ELi128ENSI_IJLi4ELi32ELi1EEEENSI_IJLi1ELi0ELi2EEEES17_Li2ELi8ELi8ELb0ELb1ELb1ES16_S17_S17_Li2ELi8ELi8ELb0ELb1ELb1ELi1ELi1ENSI_IJLi1ELi32ELi1ELi4EEEELi8ELi2ELNS_13LoopSchedulerE0ELNS_15PipelineVersionE0EEEaaNS2_IJPKaEEEaSU_SU_NS2_IJNS4_INS2_IJSA_SC_SC_NSD_INS2_IJiNS7_IiLi128EEEEEELb0EEENSD_INS2_IJiNS7_IiLi64EEEEEELb0EEEEEENS2_IJSJ_SK_SL_SN_SM_EEENS2_IJSP_SN_SM_SQ_NSI_IJLi7ELi8EEEEEEENSI_IJLi5ELi6ELi7ELi8EEEElEEEEES1Q_S13_S13_S14_NS_31BlockToCTileMap_M00_N0_M01AdaptILi128ELi64ESZ_iEELb1EEEvPKT0_PKT1_T2_PT3_T4_T5_T6_T7_T8_T9_T10_T11_
                                        ; -- End function
	.set _ZN2ck36kernel_gemm_mupltipe_d_wmma_cshuffleINS_26GridwiseGemmMultipleD_WmmaIaaiiNS_5TupleIJaEEEaNS_16TensorDescriptorINS2_IJNS_5EmbedINS2_IJiiEEENS2_IJiNS_17integral_constantIiLi1EEEEEELb0EEENS_11PassThroughIiEESC_NS_7UnMergeINS2_IJiNS7_IiLi8EEEEEELb0EEESC_EEENS2_IJNS_8SequenceIJLi0EEEENSI_IJLi1EEEENSI_IJLi2EEEENSI_IJLi4EEEENSI_IJLi3EEEEEEENS2_IJNSI_IJLi1ELi2EEEESN_SM_NSI_IJLi5ELi6EEEENSI_IJLi7EEEEEEENSI_IJLi5ELi7ELi6EEEElEESU_NS2_IJNS4_INS2_IJSA_SC_SC_EEENS2_IJSJ_SK_SL_EEENS2_IJSP_SN_SM_EEENSI_IJLi3ELi4EEEElEEEEESZ_NS_16tensor_operation12element_wise11PassThroughES13_12AlphaBetaAddLNS_25InMemoryDataOperationEnumE0ELi128ELi64ELi64ELi16ELi16ELi8ELi4ELi2ELi128ENSI_IJLi4ELi32ELi1EEEENSI_IJLi1ELi0ELi2EEEES17_Li2ELi8ELi8ELb0ELb1ELb1ES16_S17_S17_Li2ELi8ELi8ELb0ELb1ELb1ELi1ELi1ENSI_IJLi1ELi32ELi1ELi4EEEELi8ELi2ELNS_13LoopSchedulerE0ELNS_15PipelineVersionE0EEEaaNS2_IJPKaEEEaSU_SU_NS2_IJNS4_INS2_IJSA_SC_SC_NSD_INS2_IJiNS7_IiLi128EEEEEELb0EEENSD_INS2_IJiNS7_IiLi64EEEEEELb0EEEEEENS2_IJSJ_SK_SL_SN_SM_EEENS2_IJSP_SN_SM_SQ_NSI_IJLi7ELi8EEEEEEENSI_IJLi5ELi6ELi7ELi8EEEElEEEEES1Q_S13_S13_S14_NS_31BlockToCTileMap_M00_N0_M01AdaptILi128ELi64ESZ_iEELb1EEEvPKT0_PKT1_T2_PT3_T4_T5_T6_T7_T8_T9_T10_T11_.num_vgpr, 170
	.set _ZN2ck36kernel_gemm_mupltipe_d_wmma_cshuffleINS_26GridwiseGemmMultipleD_WmmaIaaiiNS_5TupleIJaEEEaNS_16TensorDescriptorINS2_IJNS_5EmbedINS2_IJiiEEENS2_IJiNS_17integral_constantIiLi1EEEEEELb0EEENS_11PassThroughIiEESC_NS_7UnMergeINS2_IJiNS7_IiLi8EEEEEELb0EEESC_EEENS2_IJNS_8SequenceIJLi0EEEENSI_IJLi1EEEENSI_IJLi2EEEENSI_IJLi4EEEENSI_IJLi3EEEEEEENS2_IJNSI_IJLi1ELi2EEEESN_SM_NSI_IJLi5ELi6EEEENSI_IJLi7EEEEEEENSI_IJLi5ELi7ELi6EEEElEESU_NS2_IJNS4_INS2_IJSA_SC_SC_EEENS2_IJSJ_SK_SL_EEENS2_IJSP_SN_SM_EEENSI_IJLi3ELi4EEEElEEEEESZ_NS_16tensor_operation12element_wise11PassThroughES13_12AlphaBetaAddLNS_25InMemoryDataOperationEnumE0ELi128ELi64ELi64ELi16ELi16ELi8ELi4ELi2ELi128ENSI_IJLi4ELi32ELi1EEEENSI_IJLi1ELi0ELi2EEEES17_Li2ELi8ELi8ELb0ELb1ELb1ES16_S17_S17_Li2ELi8ELi8ELb0ELb1ELb1ELi1ELi1ENSI_IJLi1ELi32ELi1ELi4EEEELi8ELi2ELNS_13LoopSchedulerE0ELNS_15PipelineVersionE0EEEaaNS2_IJPKaEEEaSU_SU_NS2_IJNS4_INS2_IJSA_SC_SC_NSD_INS2_IJiNS7_IiLi128EEEEEELb0EEENSD_INS2_IJiNS7_IiLi64EEEEEELb0EEEEEENS2_IJSJ_SK_SL_SN_SM_EEENS2_IJSP_SN_SM_SQ_NSI_IJLi7ELi8EEEEEEENSI_IJLi5ELi6ELi7ELi8EEEElEEEEES1Q_S13_S13_S14_NS_31BlockToCTileMap_M00_N0_M01AdaptILi128ELi64ESZ_iEELb1EEEvPKT0_PKT1_T2_PT3_T4_T5_T6_T7_T8_T9_T10_T11_.num_agpr, 0
	.set _ZN2ck36kernel_gemm_mupltipe_d_wmma_cshuffleINS_26GridwiseGemmMultipleD_WmmaIaaiiNS_5TupleIJaEEEaNS_16TensorDescriptorINS2_IJNS_5EmbedINS2_IJiiEEENS2_IJiNS_17integral_constantIiLi1EEEEEELb0EEENS_11PassThroughIiEESC_NS_7UnMergeINS2_IJiNS7_IiLi8EEEEEELb0EEESC_EEENS2_IJNS_8SequenceIJLi0EEEENSI_IJLi1EEEENSI_IJLi2EEEENSI_IJLi4EEEENSI_IJLi3EEEEEEENS2_IJNSI_IJLi1ELi2EEEESN_SM_NSI_IJLi5ELi6EEEENSI_IJLi7EEEEEEENSI_IJLi5ELi7ELi6EEEElEESU_NS2_IJNS4_INS2_IJSA_SC_SC_EEENS2_IJSJ_SK_SL_EEENS2_IJSP_SN_SM_EEENSI_IJLi3ELi4EEEElEEEEESZ_NS_16tensor_operation12element_wise11PassThroughES13_12AlphaBetaAddLNS_25InMemoryDataOperationEnumE0ELi128ELi64ELi64ELi16ELi16ELi8ELi4ELi2ELi128ENSI_IJLi4ELi32ELi1EEEENSI_IJLi1ELi0ELi2EEEES17_Li2ELi8ELi8ELb0ELb1ELb1ES16_S17_S17_Li2ELi8ELi8ELb0ELb1ELb1ELi1ELi1ENSI_IJLi1ELi32ELi1ELi4EEEELi8ELi2ELNS_13LoopSchedulerE0ELNS_15PipelineVersionE0EEEaaNS2_IJPKaEEEaSU_SU_NS2_IJNS4_INS2_IJSA_SC_SC_NSD_INS2_IJiNS7_IiLi128EEEEEELb0EEENSD_INS2_IJiNS7_IiLi64EEEEEELb0EEEEEENS2_IJSJ_SK_SL_SN_SM_EEENS2_IJSP_SN_SM_SQ_NSI_IJLi7ELi8EEEEEEENSI_IJLi5ELi6ELi7ELi8EEEElEEEEES1Q_S13_S13_S14_NS_31BlockToCTileMap_M00_N0_M01AdaptILi128ELi64ESZ_iEELb1EEEvPKT0_PKT1_T2_PT3_T4_T5_T6_T7_T8_T9_T10_T11_.numbered_sgpr, 30
	.set _ZN2ck36kernel_gemm_mupltipe_d_wmma_cshuffleINS_26GridwiseGemmMultipleD_WmmaIaaiiNS_5TupleIJaEEEaNS_16TensorDescriptorINS2_IJNS_5EmbedINS2_IJiiEEENS2_IJiNS_17integral_constantIiLi1EEEEEELb0EEENS_11PassThroughIiEESC_NS_7UnMergeINS2_IJiNS7_IiLi8EEEEEELb0EEESC_EEENS2_IJNS_8SequenceIJLi0EEEENSI_IJLi1EEEENSI_IJLi2EEEENSI_IJLi4EEEENSI_IJLi3EEEEEEENS2_IJNSI_IJLi1ELi2EEEESN_SM_NSI_IJLi5ELi6EEEENSI_IJLi7EEEEEEENSI_IJLi5ELi7ELi6EEEElEESU_NS2_IJNS4_INS2_IJSA_SC_SC_EEENS2_IJSJ_SK_SL_EEENS2_IJSP_SN_SM_EEENSI_IJLi3ELi4EEEElEEEEESZ_NS_16tensor_operation12element_wise11PassThroughES13_12AlphaBetaAddLNS_25InMemoryDataOperationEnumE0ELi128ELi64ELi64ELi16ELi16ELi8ELi4ELi2ELi128ENSI_IJLi4ELi32ELi1EEEENSI_IJLi1ELi0ELi2EEEES17_Li2ELi8ELi8ELb0ELb1ELb1ES16_S17_S17_Li2ELi8ELi8ELb0ELb1ELb1ELi1ELi1ENSI_IJLi1ELi32ELi1ELi4EEEELi8ELi2ELNS_13LoopSchedulerE0ELNS_15PipelineVersionE0EEEaaNS2_IJPKaEEEaSU_SU_NS2_IJNS4_INS2_IJSA_SC_SC_NSD_INS2_IJiNS7_IiLi128EEEEEELb0EEENSD_INS2_IJiNS7_IiLi64EEEEEELb0EEEEEENS2_IJSJ_SK_SL_SN_SM_EEENS2_IJSP_SN_SM_SQ_NSI_IJLi7ELi8EEEEEEENSI_IJLi5ELi6ELi7ELi8EEEElEEEEES1Q_S13_S13_S14_NS_31BlockToCTileMap_M00_N0_M01AdaptILi128ELi64ESZ_iEELb1EEEvPKT0_PKT1_T2_PT3_T4_T5_T6_T7_T8_T9_T10_T11_.num_named_barrier, 0
	.set _ZN2ck36kernel_gemm_mupltipe_d_wmma_cshuffleINS_26GridwiseGemmMultipleD_WmmaIaaiiNS_5TupleIJaEEEaNS_16TensorDescriptorINS2_IJNS_5EmbedINS2_IJiiEEENS2_IJiNS_17integral_constantIiLi1EEEEEELb0EEENS_11PassThroughIiEESC_NS_7UnMergeINS2_IJiNS7_IiLi8EEEEEELb0EEESC_EEENS2_IJNS_8SequenceIJLi0EEEENSI_IJLi1EEEENSI_IJLi2EEEENSI_IJLi4EEEENSI_IJLi3EEEEEEENS2_IJNSI_IJLi1ELi2EEEESN_SM_NSI_IJLi5ELi6EEEENSI_IJLi7EEEEEEENSI_IJLi5ELi7ELi6EEEElEESU_NS2_IJNS4_INS2_IJSA_SC_SC_EEENS2_IJSJ_SK_SL_EEENS2_IJSP_SN_SM_EEENSI_IJLi3ELi4EEEElEEEEESZ_NS_16tensor_operation12element_wise11PassThroughES13_12AlphaBetaAddLNS_25InMemoryDataOperationEnumE0ELi128ELi64ELi64ELi16ELi16ELi8ELi4ELi2ELi128ENSI_IJLi4ELi32ELi1EEEENSI_IJLi1ELi0ELi2EEEES17_Li2ELi8ELi8ELb0ELb1ELb1ES16_S17_S17_Li2ELi8ELi8ELb0ELb1ELb1ELi1ELi1ENSI_IJLi1ELi32ELi1ELi4EEEELi8ELi2ELNS_13LoopSchedulerE0ELNS_15PipelineVersionE0EEEaaNS2_IJPKaEEEaSU_SU_NS2_IJNS4_INS2_IJSA_SC_SC_NSD_INS2_IJiNS7_IiLi128EEEEEELb0EEENSD_INS2_IJiNS7_IiLi64EEEEEELb0EEEEEENS2_IJSJ_SK_SL_SN_SM_EEENS2_IJSP_SN_SM_SQ_NSI_IJLi7ELi8EEEEEEENSI_IJLi5ELi6ELi7ELi8EEEElEEEEES1Q_S13_S13_S14_NS_31BlockToCTileMap_M00_N0_M01AdaptILi128ELi64ESZ_iEELb1EEEvPKT0_PKT1_T2_PT3_T4_T5_T6_T7_T8_T9_T10_T11_.private_seg_size, 0
	.set _ZN2ck36kernel_gemm_mupltipe_d_wmma_cshuffleINS_26GridwiseGemmMultipleD_WmmaIaaiiNS_5TupleIJaEEEaNS_16TensorDescriptorINS2_IJNS_5EmbedINS2_IJiiEEENS2_IJiNS_17integral_constantIiLi1EEEEEELb0EEENS_11PassThroughIiEESC_NS_7UnMergeINS2_IJiNS7_IiLi8EEEEEELb0EEESC_EEENS2_IJNS_8SequenceIJLi0EEEENSI_IJLi1EEEENSI_IJLi2EEEENSI_IJLi4EEEENSI_IJLi3EEEEEEENS2_IJNSI_IJLi1ELi2EEEESN_SM_NSI_IJLi5ELi6EEEENSI_IJLi7EEEEEEENSI_IJLi5ELi7ELi6EEEElEESU_NS2_IJNS4_INS2_IJSA_SC_SC_EEENS2_IJSJ_SK_SL_EEENS2_IJSP_SN_SM_EEENSI_IJLi3ELi4EEEElEEEEESZ_NS_16tensor_operation12element_wise11PassThroughES13_12AlphaBetaAddLNS_25InMemoryDataOperationEnumE0ELi128ELi64ELi64ELi16ELi16ELi8ELi4ELi2ELi128ENSI_IJLi4ELi32ELi1EEEENSI_IJLi1ELi0ELi2EEEES17_Li2ELi8ELi8ELb0ELb1ELb1ES16_S17_S17_Li2ELi8ELi8ELb0ELb1ELb1ELi1ELi1ENSI_IJLi1ELi32ELi1ELi4EEEELi8ELi2ELNS_13LoopSchedulerE0ELNS_15PipelineVersionE0EEEaaNS2_IJPKaEEEaSU_SU_NS2_IJNS4_INS2_IJSA_SC_SC_NSD_INS2_IJiNS7_IiLi128EEEEEELb0EEENSD_INS2_IJiNS7_IiLi64EEEEEELb0EEEEEENS2_IJSJ_SK_SL_SN_SM_EEENS2_IJSP_SN_SM_SQ_NSI_IJLi7ELi8EEEEEEENSI_IJLi5ELi6ELi7ELi8EEEElEEEEES1Q_S13_S13_S14_NS_31BlockToCTileMap_M00_N0_M01AdaptILi128ELi64ESZ_iEELb1EEEvPKT0_PKT1_T2_PT3_T4_T5_T6_T7_T8_T9_T10_T11_.uses_vcc, 0
	.set _ZN2ck36kernel_gemm_mupltipe_d_wmma_cshuffleINS_26GridwiseGemmMultipleD_WmmaIaaiiNS_5TupleIJaEEEaNS_16TensorDescriptorINS2_IJNS_5EmbedINS2_IJiiEEENS2_IJiNS_17integral_constantIiLi1EEEEEELb0EEENS_11PassThroughIiEESC_NS_7UnMergeINS2_IJiNS7_IiLi8EEEEEELb0EEESC_EEENS2_IJNS_8SequenceIJLi0EEEENSI_IJLi1EEEENSI_IJLi2EEEENSI_IJLi4EEEENSI_IJLi3EEEEEEENS2_IJNSI_IJLi1ELi2EEEESN_SM_NSI_IJLi5ELi6EEEENSI_IJLi7EEEEEEENSI_IJLi5ELi7ELi6EEEElEESU_NS2_IJNS4_INS2_IJSA_SC_SC_EEENS2_IJSJ_SK_SL_EEENS2_IJSP_SN_SM_EEENSI_IJLi3ELi4EEEElEEEEESZ_NS_16tensor_operation12element_wise11PassThroughES13_12AlphaBetaAddLNS_25InMemoryDataOperationEnumE0ELi128ELi64ELi64ELi16ELi16ELi8ELi4ELi2ELi128ENSI_IJLi4ELi32ELi1EEEENSI_IJLi1ELi0ELi2EEEES17_Li2ELi8ELi8ELb0ELb1ELb1ES16_S17_S17_Li2ELi8ELi8ELb0ELb1ELb1ELi1ELi1ENSI_IJLi1ELi32ELi1ELi4EEEELi8ELi2ELNS_13LoopSchedulerE0ELNS_15PipelineVersionE0EEEaaNS2_IJPKaEEEaSU_SU_NS2_IJNS4_INS2_IJSA_SC_SC_NSD_INS2_IJiNS7_IiLi128EEEEEELb0EEENSD_INS2_IJiNS7_IiLi64EEEEEELb0EEEEEENS2_IJSJ_SK_SL_SN_SM_EEENS2_IJSP_SN_SM_SQ_NSI_IJLi7ELi8EEEEEEENSI_IJLi5ELi6ELi7ELi8EEEElEEEEES1Q_S13_S13_S14_NS_31BlockToCTileMap_M00_N0_M01AdaptILi128ELi64ESZ_iEELb1EEEvPKT0_PKT1_T2_PT3_T4_T5_T6_T7_T8_T9_T10_T11_.uses_flat_scratch, 0
	.set _ZN2ck36kernel_gemm_mupltipe_d_wmma_cshuffleINS_26GridwiseGemmMultipleD_WmmaIaaiiNS_5TupleIJaEEEaNS_16TensorDescriptorINS2_IJNS_5EmbedINS2_IJiiEEENS2_IJiNS_17integral_constantIiLi1EEEEEELb0EEENS_11PassThroughIiEESC_NS_7UnMergeINS2_IJiNS7_IiLi8EEEEEELb0EEESC_EEENS2_IJNS_8SequenceIJLi0EEEENSI_IJLi1EEEENSI_IJLi2EEEENSI_IJLi4EEEENSI_IJLi3EEEEEEENS2_IJNSI_IJLi1ELi2EEEESN_SM_NSI_IJLi5ELi6EEEENSI_IJLi7EEEEEEENSI_IJLi5ELi7ELi6EEEElEESU_NS2_IJNS4_INS2_IJSA_SC_SC_EEENS2_IJSJ_SK_SL_EEENS2_IJSP_SN_SM_EEENSI_IJLi3ELi4EEEElEEEEESZ_NS_16tensor_operation12element_wise11PassThroughES13_12AlphaBetaAddLNS_25InMemoryDataOperationEnumE0ELi128ELi64ELi64ELi16ELi16ELi8ELi4ELi2ELi128ENSI_IJLi4ELi32ELi1EEEENSI_IJLi1ELi0ELi2EEEES17_Li2ELi8ELi8ELb0ELb1ELb1ES16_S17_S17_Li2ELi8ELi8ELb0ELb1ELb1ELi1ELi1ENSI_IJLi1ELi32ELi1ELi4EEEELi8ELi2ELNS_13LoopSchedulerE0ELNS_15PipelineVersionE0EEEaaNS2_IJPKaEEEaSU_SU_NS2_IJNS4_INS2_IJSA_SC_SC_NSD_INS2_IJiNS7_IiLi128EEEEEELb0EEENSD_INS2_IJiNS7_IiLi64EEEEEELb0EEEEEENS2_IJSJ_SK_SL_SN_SM_EEENS2_IJSP_SN_SM_SQ_NSI_IJLi7ELi8EEEEEEENSI_IJLi5ELi6ELi7ELi8EEEElEEEEES1Q_S13_S13_S14_NS_31BlockToCTileMap_M00_N0_M01AdaptILi128ELi64ESZ_iEELb1EEEvPKT0_PKT1_T2_PT3_T4_T5_T6_T7_T8_T9_T10_T11_.has_dyn_sized_stack, 0
	.set _ZN2ck36kernel_gemm_mupltipe_d_wmma_cshuffleINS_26GridwiseGemmMultipleD_WmmaIaaiiNS_5TupleIJaEEEaNS_16TensorDescriptorINS2_IJNS_5EmbedINS2_IJiiEEENS2_IJiNS_17integral_constantIiLi1EEEEEELb0EEENS_11PassThroughIiEESC_NS_7UnMergeINS2_IJiNS7_IiLi8EEEEEELb0EEESC_EEENS2_IJNS_8SequenceIJLi0EEEENSI_IJLi1EEEENSI_IJLi2EEEENSI_IJLi4EEEENSI_IJLi3EEEEEEENS2_IJNSI_IJLi1ELi2EEEESN_SM_NSI_IJLi5ELi6EEEENSI_IJLi7EEEEEEENSI_IJLi5ELi7ELi6EEEElEESU_NS2_IJNS4_INS2_IJSA_SC_SC_EEENS2_IJSJ_SK_SL_EEENS2_IJSP_SN_SM_EEENSI_IJLi3ELi4EEEElEEEEESZ_NS_16tensor_operation12element_wise11PassThroughES13_12AlphaBetaAddLNS_25InMemoryDataOperationEnumE0ELi128ELi64ELi64ELi16ELi16ELi8ELi4ELi2ELi128ENSI_IJLi4ELi32ELi1EEEENSI_IJLi1ELi0ELi2EEEES17_Li2ELi8ELi8ELb0ELb1ELb1ES16_S17_S17_Li2ELi8ELi8ELb0ELb1ELb1ELi1ELi1ENSI_IJLi1ELi32ELi1ELi4EEEELi8ELi2ELNS_13LoopSchedulerE0ELNS_15PipelineVersionE0EEEaaNS2_IJPKaEEEaSU_SU_NS2_IJNS4_INS2_IJSA_SC_SC_NSD_INS2_IJiNS7_IiLi128EEEEEELb0EEENSD_INS2_IJiNS7_IiLi64EEEEEELb0EEEEEENS2_IJSJ_SK_SL_SN_SM_EEENS2_IJSP_SN_SM_SQ_NSI_IJLi7ELi8EEEEEEENSI_IJLi5ELi6ELi7ELi8EEEElEEEEES1Q_S13_S13_S14_NS_31BlockToCTileMap_M00_N0_M01AdaptILi128ELi64ESZ_iEELb1EEEvPKT0_PKT1_T2_PT3_T4_T5_T6_T7_T8_T9_T10_T11_.has_recursion, 0
	.set _ZN2ck36kernel_gemm_mupltipe_d_wmma_cshuffleINS_26GridwiseGemmMultipleD_WmmaIaaiiNS_5TupleIJaEEEaNS_16TensorDescriptorINS2_IJNS_5EmbedINS2_IJiiEEENS2_IJiNS_17integral_constantIiLi1EEEEEELb0EEENS_11PassThroughIiEESC_NS_7UnMergeINS2_IJiNS7_IiLi8EEEEEELb0EEESC_EEENS2_IJNS_8SequenceIJLi0EEEENSI_IJLi1EEEENSI_IJLi2EEEENSI_IJLi4EEEENSI_IJLi3EEEEEEENS2_IJNSI_IJLi1ELi2EEEESN_SM_NSI_IJLi5ELi6EEEENSI_IJLi7EEEEEEENSI_IJLi5ELi7ELi6EEEElEESU_NS2_IJNS4_INS2_IJSA_SC_SC_EEENS2_IJSJ_SK_SL_EEENS2_IJSP_SN_SM_EEENSI_IJLi3ELi4EEEElEEEEESZ_NS_16tensor_operation12element_wise11PassThroughES13_12AlphaBetaAddLNS_25InMemoryDataOperationEnumE0ELi128ELi64ELi64ELi16ELi16ELi8ELi4ELi2ELi128ENSI_IJLi4ELi32ELi1EEEENSI_IJLi1ELi0ELi2EEEES17_Li2ELi8ELi8ELb0ELb1ELb1ES16_S17_S17_Li2ELi8ELi8ELb0ELb1ELb1ELi1ELi1ENSI_IJLi1ELi32ELi1ELi4EEEELi8ELi2ELNS_13LoopSchedulerE0ELNS_15PipelineVersionE0EEEaaNS2_IJPKaEEEaSU_SU_NS2_IJNS4_INS2_IJSA_SC_SC_NSD_INS2_IJiNS7_IiLi128EEEEEELb0EEENSD_INS2_IJiNS7_IiLi64EEEEEELb0EEEEEENS2_IJSJ_SK_SL_SN_SM_EEENS2_IJSP_SN_SM_SQ_NSI_IJLi7ELi8EEEEEEENSI_IJLi5ELi6ELi7ELi8EEEElEEEEES1Q_S13_S13_S14_NS_31BlockToCTileMap_M00_N0_M01AdaptILi128ELi64ESZ_iEELb1EEEvPKT0_PKT1_T2_PT3_T4_T5_T6_T7_T8_T9_T10_T11_.has_indirect_call, 0
	.section	.AMDGPU.csdata,"",@progbits
; Kernel info:
; codeLenInByte = 7800
; TotalNumSgprs: 30
; NumVgprs: 170
; ScratchSize: 0
; MemoryBound: 0
; FloatMode: 240
; IeeeMode: 1
; LDSByteSize: 12400 bytes/workgroup (compile time only)
; SGPRBlocks: 0
; VGPRBlocks: 21
; NumSGPRsForWavesPerEU: 30
; NumVGPRsForWavesPerEU: 170
; Occupancy: 8
; WaveLimiterHint : 0
; COMPUTE_PGM_RSRC2:SCRATCH_EN: 0
; COMPUTE_PGM_RSRC2:USER_SGPR: 2
; COMPUTE_PGM_RSRC2:TRAP_HANDLER: 0
; COMPUTE_PGM_RSRC2:TGID_X_EN: 1
; COMPUTE_PGM_RSRC2:TGID_Y_EN: 0
; COMPUTE_PGM_RSRC2:TGID_Z_EN: 0
; COMPUTE_PGM_RSRC2:TIDIG_COMP_CNT: 0
	.section	.text._ZN2ck36kernel_gemm_mupltipe_d_wmma_cshuffleINS_26GridwiseGemmMultipleD_WmmaIaaiiNS_5TupleIJaEEEaNS_16TensorDescriptorINS2_IJNS_5EmbedINS2_IJiiEEENS2_IJiNS_17integral_constantIiLi1EEEEEELb0EEENS_11PassThroughIiEESC_NS_7UnMergeINS2_IJiNS7_IiLi8EEEEEELb0EEESC_EEENS2_IJNS_8SequenceIJLi0EEEENSI_IJLi1EEEENSI_IJLi2EEEENSI_IJLi4EEEENSI_IJLi3EEEEEEENS2_IJNSI_IJLi1ELi2EEEESN_SM_NSI_IJLi5ELi6EEEENSI_IJLi7EEEEEEENSI_IJLi5ELi7ELi6EEEElEESU_NS2_IJNS4_INS2_IJSA_SC_SC_EEENS2_IJSJ_SK_SL_EEENS2_IJSP_SN_SM_EEENSI_IJLi3ELi4EEEElEEEEESZ_NS_16tensor_operation12element_wise11PassThroughES13_12AlphaBetaAddLNS_25InMemoryDataOperationEnumE0ELi128ELi64ELi64ELi16ELi16ELi8ELi4ELi2ELi128ENSI_IJLi4ELi32ELi1EEEENSI_IJLi1ELi0ELi2EEEES17_Li2ELi8ELi8ELb0ELb1ELb1ES16_S17_S17_Li2ELi8ELi8ELb0ELb1ELb1ELi1ELi1ENSI_IJLi1ELi32ELi1ELi4EEEELi8ELi2ELNS_13LoopSchedulerE0ELNS_15PipelineVersionE0EEEaaNS2_IJPKaEEEaSU_SU_NS2_IJNS4_INS2_IJSA_SC_SC_NSD_INS2_IJiNS7_IiLi128EEEEEELb0EEENSD_INS2_IJiNS7_IiLi64EEEEEELb0EEEEEENS2_IJSJ_SK_SL_SN_SM_EEENS2_IJSP_SN_SM_SQ_NSI_IJLi7ELi8EEEEEEENSI_IJLi5ELi6ELi7ELi8EEEElEEEEES1Q_S13_S13_S14_NS_31BlockToCTileMap_M00_N0_M01AdaptILi128ELi64ESZ_iEELb0EEEvPKT0_PKT1_T2_PT3_T4_T5_T6_T7_T8_T9_T10_T11_,"axG",@progbits,_ZN2ck36kernel_gemm_mupltipe_d_wmma_cshuffleINS_26GridwiseGemmMultipleD_WmmaIaaiiNS_5TupleIJaEEEaNS_16TensorDescriptorINS2_IJNS_5EmbedINS2_IJiiEEENS2_IJiNS_17integral_constantIiLi1EEEEEELb0EEENS_11PassThroughIiEESC_NS_7UnMergeINS2_IJiNS7_IiLi8EEEEEELb0EEESC_EEENS2_IJNS_8SequenceIJLi0EEEENSI_IJLi1EEEENSI_IJLi2EEEENSI_IJLi4EEEENSI_IJLi3EEEEEEENS2_IJNSI_IJLi1ELi2EEEESN_SM_NSI_IJLi5ELi6EEEENSI_IJLi7EEEEEEENSI_IJLi5ELi7ELi6EEEElEESU_NS2_IJNS4_INS2_IJSA_SC_SC_EEENS2_IJSJ_SK_SL_EEENS2_IJSP_SN_SM_EEENSI_IJLi3ELi4EEEElEEEEESZ_NS_16tensor_operation12element_wise11PassThroughES13_12AlphaBetaAddLNS_25InMemoryDataOperationEnumE0ELi128ELi64ELi64ELi16ELi16ELi8ELi4ELi2ELi128ENSI_IJLi4ELi32ELi1EEEENSI_IJLi1ELi0ELi2EEEES17_Li2ELi8ELi8ELb0ELb1ELb1ES16_S17_S17_Li2ELi8ELi8ELb0ELb1ELb1ELi1ELi1ENSI_IJLi1ELi32ELi1ELi4EEEELi8ELi2ELNS_13LoopSchedulerE0ELNS_15PipelineVersionE0EEEaaNS2_IJPKaEEEaSU_SU_NS2_IJNS4_INS2_IJSA_SC_SC_NSD_INS2_IJiNS7_IiLi128EEEEEELb0EEENSD_INS2_IJiNS7_IiLi64EEEEEELb0EEEEEENS2_IJSJ_SK_SL_SN_SM_EEENS2_IJSP_SN_SM_SQ_NSI_IJLi7ELi8EEEEEEENSI_IJLi5ELi6ELi7ELi8EEEElEEEEES1Q_S13_S13_S14_NS_31BlockToCTileMap_M00_N0_M01AdaptILi128ELi64ESZ_iEELb0EEEvPKT0_PKT1_T2_PT3_T4_T5_T6_T7_T8_T9_T10_T11_,comdat
	.protected	_ZN2ck36kernel_gemm_mupltipe_d_wmma_cshuffleINS_26GridwiseGemmMultipleD_WmmaIaaiiNS_5TupleIJaEEEaNS_16TensorDescriptorINS2_IJNS_5EmbedINS2_IJiiEEENS2_IJiNS_17integral_constantIiLi1EEEEEELb0EEENS_11PassThroughIiEESC_NS_7UnMergeINS2_IJiNS7_IiLi8EEEEEELb0EEESC_EEENS2_IJNS_8SequenceIJLi0EEEENSI_IJLi1EEEENSI_IJLi2EEEENSI_IJLi4EEEENSI_IJLi3EEEEEEENS2_IJNSI_IJLi1ELi2EEEESN_SM_NSI_IJLi5ELi6EEEENSI_IJLi7EEEEEEENSI_IJLi5ELi7ELi6EEEElEESU_NS2_IJNS4_INS2_IJSA_SC_SC_EEENS2_IJSJ_SK_SL_EEENS2_IJSP_SN_SM_EEENSI_IJLi3ELi4EEEElEEEEESZ_NS_16tensor_operation12element_wise11PassThroughES13_12AlphaBetaAddLNS_25InMemoryDataOperationEnumE0ELi128ELi64ELi64ELi16ELi16ELi8ELi4ELi2ELi128ENSI_IJLi4ELi32ELi1EEEENSI_IJLi1ELi0ELi2EEEES17_Li2ELi8ELi8ELb0ELb1ELb1ES16_S17_S17_Li2ELi8ELi8ELb0ELb1ELb1ELi1ELi1ENSI_IJLi1ELi32ELi1ELi4EEEELi8ELi2ELNS_13LoopSchedulerE0ELNS_15PipelineVersionE0EEEaaNS2_IJPKaEEEaSU_SU_NS2_IJNS4_INS2_IJSA_SC_SC_NSD_INS2_IJiNS7_IiLi128EEEEEELb0EEENSD_INS2_IJiNS7_IiLi64EEEEEELb0EEEEEENS2_IJSJ_SK_SL_SN_SM_EEENS2_IJSP_SN_SM_SQ_NSI_IJLi7ELi8EEEEEEENSI_IJLi5ELi6ELi7ELi8EEEElEEEEES1Q_S13_S13_S14_NS_31BlockToCTileMap_M00_N0_M01AdaptILi128ELi64ESZ_iEELb0EEEvPKT0_PKT1_T2_PT3_T4_T5_T6_T7_T8_T9_T10_T11_ ; -- Begin function _ZN2ck36kernel_gemm_mupltipe_d_wmma_cshuffleINS_26GridwiseGemmMultipleD_WmmaIaaiiNS_5TupleIJaEEEaNS_16TensorDescriptorINS2_IJNS_5EmbedINS2_IJiiEEENS2_IJiNS_17integral_constantIiLi1EEEEEELb0EEENS_11PassThroughIiEESC_NS_7UnMergeINS2_IJiNS7_IiLi8EEEEEELb0EEESC_EEENS2_IJNS_8SequenceIJLi0EEEENSI_IJLi1EEEENSI_IJLi2EEEENSI_IJLi4EEEENSI_IJLi3EEEEEEENS2_IJNSI_IJLi1ELi2EEEESN_SM_NSI_IJLi5ELi6EEEENSI_IJLi7EEEEEEENSI_IJLi5ELi7ELi6EEEElEESU_NS2_IJNS4_INS2_IJSA_SC_SC_EEENS2_IJSJ_SK_SL_EEENS2_IJSP_SN_SM_EEENSI_IJLi3ELi4EEEElEEEEESZ_NS_16tensor_operation12element_wise11PassThroughES13_12AlphaBetaAddLNS_25InMemoryDataOperationEnumE0ELi128ELi64ELi64ELi16ELi16ELi8ELi4ELi2ELi128ENSI_IJLi4ELi32ELi1EEEENSI_IJLi1ELi0ELi2EEEES17_Li2ELi8ELi8ELb0ELb1ELb1ES16_S17_S17_Li2ELi8ELi8ELb0ELb1ELb1ELi1ELi1ENSI_IJLi1ELi32ELi1ELi4EEEELi8ELi2ELNS_13LoopSchedulerE0ELNS_15PipelineVersionE0EEEaaNS2_IJPKaEEEaSU_SU_NS2_IJNS4_INS2_IJSA_SC_SC_NSD_INS2_IJiNS7_IiLi128EEEEEELb0EEENSD_INS2_IJiNS7_IiLi64EEEEEELb0EEEEEENS2_IJSJ_SK_SL_SN_SM_EEENS2_IJSP_SN_SM_SQ_NSI_IJLi7ELi8EEEEEEENSI_IJLi5ELi6ELi7ELi8EEEElEEEEES1Q_S13_S13_S14_NS_31BlockToCTileMap_M00_N0_M01AdaptILi128ELi64ESZ_iEELb0EEEvPKT0_PKT1_T2_PT3_T4_T5_T6_T7_T8_T9_T10_T11_
	.globl	_ZN2ck36kernel_gemm_mupltipe_d_wmma_cshuffleINS_26GridwiseGemmMultipleD_WmmaIaaiiNS_5TupleIJaEEEaNS_16TensorDescriptorINS2_IJNS_5EmbedINS2_IJiiEEENS2_IJiNS_17integral_constantIiLi1EEEEEELb0EEENS_11PassThroughIiEESC_NS_7UnMergeINS2_IJiNS7_IiLi8EEEEEELb0EEESC_EEENS2_IJNS_8SequenceIJLi0EEEENSI_IJLi1EEEENSI_IJLi2EEEENSI_IJLi4EEEENSI_IJLi3EEEEEEENS2_IJNSI_IJLi1ELi2EEEESN_SM_NSI_IJLi5ELi6EEEENSI_IJLi7EEEEEEENSI_IJLi5ELi7ELi6EEEElEESU_NS2_IJNS4_INS2_IJSA_SC_SC_EEENS2_IJSJ_SK_SL_EEENS2_IJSP_SN_SM_EEENSI_IJLi3ELi4EEEElEEEEESZ_NS_16tensor_operation12element_wise11PassThroughES13_12AlphaBetaAddLNS_25InMemoryDataOperationEnumE0ELi128ELi64ELi64ELi16ELi16ELi8ELi4ELi2ELi128ENSI_IJLi4ELi32ELi1EEEENSI_IJLi1ELi0ELi2EEEES17_Li2ELi8ELi8ELb0ELb1ELb1ES16_S17_S17_Li2ELi8ELi8ELb0ELb1ELb1ELi1ELi1ENSI_IJLi1ELi32ELi1ELi4EEEELi8ELi2ELNS_13LoopSchedulerE0ELNS_15PipelineVersionE0EEEaaNS2_IJPKaEEEaSU_SU_NS2_IJNS4_INS2_IJSA_SC_SC_NSD_INS2_IJiNS7_IiLi128EEEEEELb0EEENSD_INS2_IJiNS7_IiLi64EEEEEELb0EEEEEENS2_IJSJ_SK_SL_SN_SM_EEENS2_IJSP_SN_SM_SQ_NSI_IJLi7ELi8EEEEEEENSI_IJLi5ELi6ELi7ELi8EEEElEEEEES1Q_S13_S13_S14_NS_31BlockToCTileMap_M00_N0_M01AdaptILi128ELi64ESZ_iEELb0EEEvPKT0_PKT1_T2_PT3_T4_T5_T6_T7_T8_T9_T10_T11_
	.p2align	8
	.type	_ZN2ck36kernel_gemm_mupltipe_d_wmma_cshuffleINS_26GridwiseGemmMultipleD_WmmaIaaiiNS_5TupleIJaEEEaNS_16TensorDescriptorINS2_IJNS_5EmbedINS2_IJiiEEENS2_IJiNS_17integral_constantIiLi1EEEEEELb0EEENS_11PassThroughIiEESC_NS_7UnMergeINS2_IJiNS7_IiLi8EEEEEELb0EEESC_EEENS2_IJNS_8SequenceIJLi0EEEENSI_IJLi1EEEENSI_IJLi2EEEENSI_IJLi4EEEENSI_IJLi3EEEEEEENS2_IJNSI_IJLi1ELi2EEEESN_SM_NSI_IJLi5ELi6EEEENSI_IJLi7EEEEEEENSI_IJLi5ELi7ELi6EEEElEESU_NS2_IJNS4_INS2_IJSA_SC_SC_EEENS2_IJSJ_SK_SL_EEENS2_IJSP_SN_SM_EEENSI_IJLi3ELi4EEEElEEEEESZ_NS_16tensor_operation12element_wise11PassThroughES13_12AlphaBetaAddLNS_25InMemoryDataOperationEnumE0ELi128ELi64ELi64ELi16ELi16ELi8ELi4ELi2ELi128ENSI_IJLi4ELi32ELi1EEEENSI_IJLi1ELi0ELi2EEEES17_Li2ELi8ELi8ELb0ELb1ELb1ES16_S17_S17_Li2ELi8ELi8ELb0ELb1ELb1ELi1ELi1ENSI_IJLi1ELi32ELi1ELi4EEEELi8ELi2ELNS_13LoopSchedulerE0ELNS_15PipelineVersionE0EEEaaNS2_IJPKaEEEaSU_SU_NS2_IJNS4_INS2_IJSA_SC_SC_NSD_INS2_IJiNS7_IiLi128EEEEEELb0EEENSD_INS2_IJiNS7_IiLi64EEEEEELb0EEEEEENS2_IJSJ_SK_SL_SN_SM_EEENS2_IJSP_SN_SM_SQ_NSI_IJLi7ELi8EEEEEEENSI_IJLi5ELi6ELi7ELi8EEEElEEEEES1Q_S13_S13_S14_NS_31BlockToCTileMap_M00_N0_M01AdaptILi128ELi64ESZ_iEELb0EEEvPKT0_PKT1_T2_PT3_T4_T5_T6_T7_T8_T9_T10_T11_,@function
_ZN2ck36kernel_gemm_mupltipe_d_wmma_cshuffleINS_26GridwiseGemmMultipleD_WmmaIaaiiNS_5TupleIJaEEEaNS_16TensorDescriptorINS2_IJNS_5EmbedINS2_IJiiEEENS2_IJiNS_17integral_constantIiLi1EEEEEELb0EEENS_11PassThroughIiEESC_NS_7UnMergeINS2_IJiNS7_IiLi8EEEEEELb0EEESC_EEENS2_IJNS_8SequenceIJLi0EEEENSI_IJLi1EEEENSI_IJLi2EEEENSI_IJLi4EEEENSI_IJLi3EEEEEEENS2_IJNSI_IJLi1ELi2EEEESN_SM_NSI_IJLi5ELi6EEEENSI_IJLi7EEEEEEENSI_IJLi5ELi7ELi6EEEElEESU_NS2_IJNS4_INS2_IJSA_SC_SC_EEENS2_IJSJ_SK_SL_EEENS2_IJSP_SN_SM_EEENSI_IJLi3ELi4EEEElEEEEESZ_NS_16tensor_operation12element_wise11PassThroughES13_12AlphaBetaAddLNS_25InMemoryDataOperationEnumE0ELi128ELi64ELi64ELi16ELi16ELi8ELi4ELi2ELi128ENSI_IJLi4ELi32ELi1EEEENSI_IJLi1ELi0ELi2EEEES17_Li2ELi8ELi8ELb0ELb1ELb1ES16_S17_S17_Li2ELi8ELi8ELb0ELb1ELb1ELi1ELi1ENSI_IJLi1ELi32ELi1ELi4EEEELi8ELi2ELNS_13LoopSchedulerE0ELNS_15PipelineVersionE0EEEaaNS2_IJPKaEEEaSU_SU_NS2_IJNS4_INS2_IJSA_SC_SC_NSD_INS2_IJiNS7_IiLi128EEEEEELb0EEENSD_INS2_IJiNS7_IiLi64EEEEEELb0EEEEEENS2_IJSJ_SK_SL_SN_SM_EEENS2_IJSP_SN_SM_SQ_NSI_IJLi7ELi8EEEEEEENSI_IJLi5ELi6ELi7ELi8EEEElEEEEES1Q_S13_S13_S14_NS_31BlockToCTileMap_M00_N0_M01AdaptILi128ELi64ESZ_iEELb0EEEvPKT0_PKT1_T2_PT3_T4_T5_T6_T7_T8_T9_T10_T11_: ; @_ZN2ck36kernel_gemm_mupltipe_d_wmma_cshuffleINS_26GridwiseGemmMultipleD_WmmaIaaiiNS_5TupleIJaEEEaNS_16TensorDescriptorINS2_IJNS_5EmbedINS2_IJiiEEENS2_IJiNS_17integral_constantIiLi1EEEEEELb0EEENS_11PassThroughIiEESC_NS_7UnMergeINS2_IJiNS7_IiLi8EEEEEELb0EEESC_EEENS2_IJNS_8SequenceIJLi0EEEENSI_IJLi1EEEENSI_IJLi2EEEENSI_IJLi4EEEENSI_IJLi3EEEEEEENS2_IJNSI_IJLi1ELi2EEEESN_SM_NSI_IJLi5ELi6EEEENSI_IJLi7EEEEEEENSI_IJLi5ELi7ELi6EEEElEESU_NS2_IJNS4_INS2_IJSA_SC_SC_EEENS2_IJSJ_SK_SL_EEENS2_IJSP_SN_SM_EEENSI_IJLi3ELi4EEEElEEEEESZ_NS_16tensor_operation12element_wise11PassThroughES13_12AlphaBetaAddLNS_25InMemoryDataOperationEnumE0ELi128ELi64ELi64ELi16ELi16ELi8ELi4ELi2ELi128ENSI_IJLi4ELi32ELi1EEEENSI_IJLi1ELi0ELi2EEEES17_Li2ELi8ELi8ELb0ELb1ELb1ES16_S17_S17_Li2ELi8ELi8ELb0ELb1ELb1ELi1ELi1ENSI_IJLi1ELi32ELi1ELi4EEEELi8ELi2ELNS_13LoopSchedulerE0ELNS_15PipelineVersionE0EEEaaNS2_IJPKaEEEaSU_SU_NS2_IJNS4_INS2_IJSA_SC_SC_NSD_INS2_IJiNS7_IiLi128EEEEEELb0EEENSD_INS2_IJiNS7_IiLi64EEEEEELb0EEEEEENS2_IJSJ_SK_SL_SN_SM_EEENS2_IJSP_SN_SM_SQ_NSI_IJLi7ELi8EEEEEEENSI_IJLi5ELi6ELi7ELi8EEEElEEEEES1Q_S13_S13_S14_NS_31BlockToCTileMap_M00_N0_M01AdaptILi128ELi64ESZ_iEELb0EEEvPKT0_PKT1_T2_PT3_T4_T5_T6_T7_T8_T9_T10_T11_
; %bb.0:
	s_clause 0x1
	s_load_b96 s[4:6], s[0:1], 0x11c
	s_load_b64 s[24:25], s[0:1], 0x114
	s_abs_i32 s9, ttmp9
	v_lshlrev_b32_e32 v25, 1, v0
	v_lshrrev_b32_e32 v109, 1, v0
	v_and_b32_e32 v33, 0xfc, v0
	s_delay_alu instid0(VALU_DEP_3) | instskip(NEXT) | instid1(VALU_DEP_3)
	v_and_b32_e32 v26, 6, v25
	v_and_b32_e32 v34, 0x7e, v109
	s_wait_kmcnt 0x0
	s_add_co_i32 s2, s4, 0x7f
	s_add_co_i32 s3, s5, 63
	s_ashr_i32 s4, s2, 31
	s_ashr_i32 s5, s3, 31
	s_lshr_b32 s4, s4, 25
	s_lshr_b32 s5, s5, 26
	s_add_co_i32 s2, s2, s4
	s_add_co_i32 s3, s3, s5
	s_ashr_i32 s4, s2, 7
	s_ashr_i32 s3, s3, 6
	s_delay_alu instid0(SALU_CYCLE_1) | instskip(NEXT) | instid1(SALU_CYCLE_1)
	s_mul_i32 s5, s3, s4
	s_abs_i32 s5, s5
	s_delay_alu instid0(SALU_CYCLE_1) | instskip(SKIP_1) | instid1(SALU_CYCLE_2)
	s_cvt_f32_u32 s7, s5
	s_sub_co_i32 s8, 0, s5
	v_rcp_iflag_f32_e32 v1, s7
	s_delay_alu instid0(TRANS32_DEP_1) | instskip(SKIP_2) | instid1(SALU_CYCLE_2)
	v_readfirstlane_b32 s7, v1
	s_mul_f32 s7, s7, 0x4f7ffffe
	s_wait_alu 0xfffe
	s_cvt_u32_f32 s7, s7
	s_wait_alu 0xfffe
	s_delay_alu instid0(SALU_CYCLE_2) | instskip(NEXT) | instid1(SALU_CYCLE_1)
	s_mul_i32 s8, s8, s7
	s_mul_hi_u32 s8, s7, s8
	s_delay_alu instid0(SALU_CYCLE_1)
	s_add_co_i32 s7, s7, s8
	s_ashr_i32 s8, ttmp9, 31
	s_wait_alu 0xfffe
	s_mul_hi_u32 s7, s9, s7
	s_wait_alu 0xfffe
	s_mul_i32 s7, s7, s5
	s_wait_alu 0xfffe
	s_sub_co_i32 s7, s9, s7
	s_wait_alu 0xfffe
	s_sub_co_i32 s9, s7, s5
	s_cmp_ge_u32 s7, s5
	s_cselect_b32 s7, s9, s7
	s_wait_alu 0xfffe
	s_sub_co_i32 s9, s7, s5
	s_cmp_ge_u32 s7, s5
	s_cselect_b32 s5, s9, s7
	s_abs_i32 s7, s3
	s_xor_b32 s5, s5, s8
	s_wait_alu 0xfffe
	s_cvt_f32_u32 s9, s7
	s_sub_co_i32 s10, 0, s7
	s_sub_co_i32 s5, s5, s8
	s_delay_alu instid0(SALU_CYCLE_1) | instskip(NEXT) | instid1(TRANS32_DEP_1)
	v_rcp_iflag_f32_e32 v1, s9
	v_readfirstlane_b32 s9, v1
	s_mul_f32 s9, s9, 0x4f7ffffe
	s_wait_alu 0xfffe
	s_delay_alu instid0(SALU_CYCLE_2) | instskip(SKIP_1) | instid1(SALU_CYCLE_2)
	s_cvt_u32_f32 s9, s9
	s_wait_alu 0xfffe
	s_mul_i32 s10, s10, s9
	s_delay_alu instid0(SALU_CYCLE_1)
	s_mul_hi_u32 s8, s9, s10
	s_abs_i32 s10, s5
	s_wait_alu 0xfffe
	s_add_co_i32 s9, s9, s8
	s_wait_alu 0xfffe
	s_mul_hi_u32 s8, s10, s9
	s_xor_b32 s9, s5, s3
	s_wait_alu 0xfffe
	s_mul_i32 s11, s8, s7
	s_ashr_i32 s9, s9, 31
	s_sub_co_i32 s10, s10, s11
	s_add_co_i32 s11, s8, 1
	s_sub_co_i32 s12, s10, s7
	s_cmp_ge_u32 s10, s7
	s_cselect_b32 s8, s11, s8
	s_cselect_b32 s10, s12, s10
	s_wait_alu 0xfffe
	s_add_co_i32 s11, s8, 1
	s_cmp_ge_u32 s10, s7
	s_cselect_b32 s7, s11, s8
	s_abs_i32 s8, s6
	s_abs_i32 s12, s4
	s_wait_alu 0xfffe
	s_cvt_f32_u32 s10, s8
	s_sub_co_i32 s11, 0, s8
	s_xor_b32 s7, s7, s9
	s_ashr_i32 s2, s2, 31
	v_rcp_iflag_f32_e32 v1, s10
	s_delay_alu instid0(TRANS32_DEP_1) | instskip(SKIP_2) | instid1(SALU_CYCLE_2)
	v_readfirstlane_b32 s10, v1
	s_mul_f32 s10, s10, 0x4f7ffffe
	s_wait_alu 0xfffe
	s_cvt_u32_f32 s10, s10
	s_wait_alu 0xfffe
	s_delay_alu instid0(SALU_CYCLE_2)
	s_mul_i32 s11, s11, s10
	s_wait_alu 0xfffe
	s_mul_hi_u32 s11, s10, s11
	s_wait_alu 0xfffe
	s_add_co_i32 s10, s10, s11
	s_wait_alu 0xfffe
	s_mul_hi_u32 s11, s12, s10
	s_wait_alu 0xfffe
	s_mul_i32 s11, s11, s8
	s_wait_alu 0xfffe
	s_sub_co_i32 s11, s12, s11
	s_sub_co_i32 s12, s7, s9
	s_wait_alu 0xfffe
	s_sub_co_i32 s7, s11, s8
	s_cmp_ge_u32 s11, s8
	s_wait_alu 0xfffe
	s_cselect_b32 s7, s7, s11
	s_wait_alu 0xfffe
	s_sub_co_i32 s9, s7, s8
	s_cmp_ge_u32 s7, s8
	s_wait_alu 0xfffe
	s_cselect_b32 s7, s9, s7
	s_wait_alu 0xfffe
	s_xor_b32 s7, s7, s2
	s_wait_alu 0xfffe
	s_sub_co_i32 s2, s7, s2
	s_delay_alu instid0(SALU_CYCLE_1) | instskip(NEXT) | instid1(SALU_CYCLE_1)
	s_sub_co_i32 s4, s4, s2
	s_cmp_lt_i32 s12, s4
	s_cselect_b32 s13, s6, s2
	s_abs_i32 s2, s12
	s_mul_i32 s6, s12, s3
	s_mul_hi_u32 s4, s2, s10
	s_wait_alu 0xfffe
	s_sub_co_i32 s15, s5, s6
	s_mul_i32 s4, s4, s8
	s_ashr_i32 s16, s12, 31
	s_sub_co_i32 s2, s2, s4
	s_delay_alu instid0(SALU_CYCLE_1) | instskip(SKIP_2) | instid1(SALU_CYCLE_1)
	s_sub_co_i32 s4, s2, s8
	s_cmp_ge_u32 s2, s8
	s_cselect_b32 s2, s4, s2
	s_sub_co_i32 s4, s2, s8
	s_cmp_ge_u32 s2, s8
	s_cselect_b32 s17, s4, s2
	s_abs_i32 s19, s13
	s_load_b256 s[4:11], s[0:1], 0x0
	s_cvt_f32_u32 s2, s19
	s_delay_alu instid0(SALU_CYCLE_3) | instskip(NEXT) | instid1(TRANS32_DEP_1)
	v_rcp_iflag_f32_e32 v1, s2
	v_readfirstlane_b32 s2, v1
	v_lshlrev_b32_e32 v1, 3, v26
	s_mul_f32 s20, s2, 0x4f7ffffe
	s_clause 0x7
	s_load_b32 s28, s[0:1], 0x28
	s_load_b32 s29, s[0:1], 0x60
	;; [unrolled: 1-line block ×8, first 2 shown]
	s_xor_b32 s0, s17, s16
	s_cvt_u32_f32 s1, s20
	s_sub_co_i32 s0, s0, s16
	s_sub_co_i32 s16, 0, s19
	s_mul_i32 s3, s0, s3
	s_mul_i32 s16, s16, s1
	s_wait_alu 0xfffe
	s_add_co_i32 s3, s3, s15
	s_mul_hi_u32 s15, s1, s16
	s_wait_alu 0xfffe
	s_abs_i32 s16, s3
	s_add_co_i32 s1, s1, s15
	s_xor_b32 s15, s3, s13
	s_mul_hi_u32 s1, s16, s1
	s_ashr_i32 s15, s15, 31
	s_mul_i32 s17, s1, s19
	s_delay_alu instid0(SALU_CYCLE_1)
	s_sub_co_i32 s16, s16, s17
	s_add_co_i32 s17, s1, 1
	s_sub_co_i32 s20, s16, s19
	s_cmp_ge_u32 s16, s19
	s_cselect_b32 s1, s17, s1
	s_cselect_b32 s16, s20, s16
	s_add_co_i32 s17, s1, 1
	s_cmp_ge_u32 s16, s19
	s_mov_b32 s19, 0x31004000
	s_cselect_b32 s1, s17, s1
	s_sub_co_i32 s0, s12, s0
	s_xor_b32 s1, s1, s15
	s_mov_b32 s23, s19
	s_sub_co_i32 s1, s1, s15
	s_wait_kmcnt 0x0
	s_mov_b32 s20, s6
	v_lshl_add_u32 v2, s1, 6, v34
	s_mul_i32 s13, s1, s13
	s_and_b32 s21, s7, 0xffff
	s_sub_co_i32 s3, s3, s13
	s_mov_b32 s16, s4
	v_mad_co_u64_u32 v[21:22], null, v2, s29, v[1:2]
	s_wait_alu 0xfffe
	s_add_co_i32 s0, s0, s3
	s_and_b32 s17, s5, 0xffff
	s_wait_alu 0xfffe
	v_lshl_add_u32 v3, s0, 7, v33
	v_lshlrev_b32_e32 v33, 3, v33
	s_mov_b32 s15, s19
	s_mov_b32 s12, s8
	s_and_b32 s13, s9, 0xffff
	v_mad_co_u64_u32 v[13:14], null, v3, s28, v[1:2]
	s_clause 0x1
	buffer_load_b128 v[1:4], v21, s[20:23], null offen
	buffer_load_b128 v[5:8], v21, s[20:23], null offen offset:64
	v_mad_u32_u24 v99, 0x408, v26, v33
	s_mov_b32 s3, s19
	s_lshl_b32 s4, s27, 5
	s_lshl_b32 s5, s26, 5
	v_add_nc_u32_e32 v22, s28, v13
	buffer_load_b128 v[9:12], v13, s[16:19], null offen
	s_wait_loadcnt 0x2
	v_mov_b32_e32 v33, v3
	s_wait_loadcnt 0x1
	v_mov_b32_e32 v73, v7
	v_add_nc_u32_e32 v23, s28, v22
	v_dual_mov_b32 v3, v5 :: v_dual_mov_b32 v74, v8
	buffer_load_b128 v[17:20], v23, s[16:19], null offen
	v_add_nc_u32_e32 v27, s28, v23
	s_clause 0x1
	buffer_load_b64 v[23:24], v22, s[16:19], null offen
	buffer_load_b128 v[13:16], v13, s[16:19], null offen offset:64
	v_add_nc_u32_e32 v43, 64, v22
	v_add_nc_u32_e32 v21, s29, v21
	;; [unrolled: 1-line block ×3, first 2 shown]
	s_wait_loadcnt 0x3
	v_dual_mov_b32 v5, v11 :: v_dual_add_nc_u32 v22, 0x48, v22
	v_add_nc_u32_e32 v44, s28, v43
	s_wait_loadcnt 0x0
	v_dual_mov_b32 v66, v14 :: v_dual_add_nc_u32 v45, 8, v21
	v_add_nc_u32_e32 v36, 8, v27
	s_clause 0x1
	buffer_load_b64 v[27:28], v27, s[16:19], null offen
	buffer_load_b128 v[29:32], v44, s[16:19], null offen
	v_mov_b32_e32 v8, v16
	s_clause 0x1
	buffer_load_b64 v[37:38], v35, s[16:19], null offen
	buffer_load_b64 v[39:40], v36, s[16:19], null offen
	s_clause 0x1
	buffer_load_b64 v[41:42], v21, s[20:23], null offen
	buffer_load_b64 v[35:36], v45, s[20:23], null offen
	v_dual_mov_b32 v65, v13 :: v_dual_add_nc_u32 v44, s28, v44
	v_add_nc_u32_e32 v45, 0x48, v21
	v_add_nc_u32_e32 v21, 64, v21
	s_delay_alu instid0(VALU_DEP_3)
	v_dual_mov_b32 v7, v15 :: v_dual_add_nc_u32 v46, 8, v44
	s_wait_loadcnt 0x4
	v_mov_b32_e32 v70, v30
	s_clause 0x3
	buffer_load_b64 v[67:68], v43, s[16:19], null offen
	buffer_load_b64 v[71:72], v44, s[16:19], null offen
	;; [unrolled: 1-line block ×4, first 2 shown]
	s_clause 0x1
	buffer_load_b64 v[97:98], v21, s[20:23], null offen
	buffer_load_b64 v[75:76], v45, s[20:23], null offen
	v_and_b32_e32 v21, 15, v0
	v_bfe_u32 v22, v0, 4, 1
	v_mul_u32_u24_e32 v44, 0x408, v26
	v_dual_mov_b32 v26, v18 :: v_dual_lshlrev_b32 v45, 9, v26
	s_delay_alu instid0(VALU_DEP_4)
	v_lshlrev_b32_e32 v43, 3, v21
	v_and_or_b32 v110, v109, 16, v21
	v_mul_u32_u24_e32 v21, 0x208, v22
	v_mov_b32_e32 v69, v29
	v_mov_b32_e32 v11, v31
	v_and_or_b32 v25, 0x180, v25, v43
	v_sub_nc_u32_e32 v43, v44, v45
	v_lshl_add_u32 v21, v110, 3, v21
	v_lshlrev_b32_e32 v18, 3, v0
	s_delay_alu instid0(VALU_DEP_4) | instskip(NEXT) | instid1(VALU_DEP_4)
	v_mad_u32_u24 v111, 0x408, v22, v25
	v_lshl_add_u32 v101, v34, 3, v43
	s_delay_alu instid0(VALU_DEP_4)
	v_add_nc_u32_e32 v100, 0x2000, v21
	v_dual_mov_b32 v34, v4 :: v_dual_add_nc_u32 v105, 0x2800, v21
	v_dual_mov_b32 v4, v6 :: v_dual_mov_b32 v21, v9
	v_mov_b32_e32 v22, v10
	v_dual_mov_b32 v6, v12 :: v_dual_mov_b32 v25, v17
	v_dual_mov_b32 v9, v19 :: v_dual_mov_b32 v10, v20
	v_add_nc_u32_e32 v112, 0x800, v111
	v_add_nc_u32_e32 v102, 0x2038, v101
	;; [unrolled: 1-line block ×4, first 2 shown]
	ds_store_b128 v99, v[21:24]
	ds_store_b128 v99, v[25:28] offset:16
	s_wait_loadcnt 0x9
	ds_store_2addr_b64 v99, v[5:6], v[37:38] offset0:129 offset1:130
	s_wait_loadcnt 0x8
	ds_store_2addr_b64 v99, v[9:10], v[39:40] offset0:131 offset1:132
	s_wait_loadcnt 0x7
	ds_store_2addr_b64 v102, v[1:2], v[41:42] offset1:1
	s_wait_loadcnt 0x6
	ds_store_b128 v101, v[33:36] offset:8768
	s_wait_dscnt 0x0
	s_barrier_signal -1
	s_barrier_wait -1
	ds_load_2addr_b64 v[77:80], v111 offset1:32
	ds_load_2addr_b64 v[33:36], v100 offset0:7 offset1:39
	ds_load_2addr_b64 v[81:84], v112 offset0:2 offset1:34
	;; [unrolled: 1-line block ×11, first 2 shown]
	v_mov_b32_e32 v12, v32
	s_wait_dscnt 0x0
	s_barrier_signal -1
	s_barrier_wait -1
	v_lshrrev_b32_e32 v17, 2, v0
	v_and_b32_e32 v19, 8, v109
	s_wait_loadcnt 0x5
	ds_store_b128 v99, v[65:68]
	s_wait_loadcnt 0x4
	ds_store_b128 v99, v[69:72] offset:16
	s_wait_loadcnt 0x3
	ds_store_2addr_b64 v99, v[7:8], v[93:94] offset0:129 offset1:130
	s_wait_loadcnt 0x2
	ds_store_2addr_b64 v99, v[11:12], v[95:96] offset0:131 offset1:132
	s_wait_loadcnt 0x1
	ds_store_2addr_b64 v102, v[3:4], v[97:98] offset1:1
	s_wait_loadcnt 0x0
	ds_store_b128 v101, v[73:76] offset:8768
	v_perm_b32 v78, v78, v78, 0x3020504
	s_wait_dscnt 0x0
	s_barrier_signal -1
	s_barrier_wait -1
	ds_load_2addr_b64 v[9:12], v100 offset0:7 offset1:39
	ds_load_2addr_b64 v[93:96], v111 offset1:32
	v_perm_b32 v82, v82, v82, 0x3020504
	v_wmma_i32_16x16x16_iu8 v[66:73], v[77:78], v[33:34], 0 neg_lo:[1,1,0]
	ds_load_2addr_b64 v[5:8], v100 offset0:137 offset1:169
	ds_load_2addr_b64 v[97:100], v112 offset0:2 offset1:34
	v_perm_b32 v86, v86, v86, 0x3020504
	ds_load_2addr_b64 v[1:4], v105 offset0:11 offset1:43
	ds_load_2addr_b64 v[101:104], v113 offset0:4 offset1:36
	v_wmma_i32_16x16x16_iu8 v[66:73], v[81:82], v[37:38], v[66:73] neg_lo:[1,1,0]
	v_perm_b32 v90, v90, v90, 0x3020504
	ds_load_2addr_b64 v[13:16], v105 offset0:141 offset1:173
	ds_load_2addr_b64 v[105:108], v114 offset0:6 offset1:38
	v_bfe_u32 v74, v0, 2, 5
	v_lshrrev_b32_e32 v75, 7, v0
	v_wmma_i32_16x16x16_iu8 v[66:73], v[85:86], v[41:42], v[66:73] neg_lo:[1,1,0]
	v_and_b32_e32 v76, 24, v18
	v_and_or_b32 v0, v17, 16, v19
	v_lshlrev_b32_e32 v17, 7, v74
	v_lshlrev_b32_e32 v18, 12, v75
	v_wmma_i32_16x16x16_iu8 v[66:73], v[89:90], v[45:46], v[66:73] neg_lo:[1,1,0]
	v_lshlrev_b32_e32 v19, 2, v76
	v_lshlrev_b32_e32 v20, 7, v0
	v_add_nc_u32_e32 v75, s0, v75
	ds_load_2addr_b64 v[29:32], v111 offset0:64 offset1:96
	ds_load_2addr_b64 v[25:28], v112 offset0:66 offset1:98
	;; [unrolled: 1-line block ×3, first 2 shown]
	s_wait_dscnt 0x9
	v_wmma_i32_16x16x16_iu8 v[66:73], v[93:94], v[9:10], v[66:73] neg_lo:[1,1,0]
	v_or3_b32 v0, v17, v18, v19
	v_lshl_or_b32 v65, v110, 2, v20
	ds_load_2addr_b64 v[17:20], v114 offset0:70 offset1:102
	v_lshl_or_b32 v114, v75, 7, v74
	s_wait_dscnt 0x8
	v_wmma_i32_16x16x16_iu8 v[66:73], v[97:98], v[5:6], v[66:73] neg_lo:[1,1,0]
	v_lshl_or_b32 v74, s1, 6, v76
	s_wait_dscnt 0x0
	s_barrier_signal -1
	s_barrier_wait -1
	v_wmma_i32_16x16x16_iu8 v[66:73], v[101:102], v[1:2], v[66:73] neg_lo:[1,1,0]
	v_mad_co_u64_u32 v[75:76], null, v114, s27, v[74:75]
	s_mov_b32 s0, s10
	s_and_b32 s1, s11, 0xffff
	v_wmma_i32_16x16x16_iu8 v[66:73], v[105:106], v[13:14], v[66:73] neg_lo:[1,1,0]
	ds_store_2addr_b32 v65, v66, v67 offset1:32
	ds_store_2addr_b32 v65, v68, v69 offset0:64 offset1:96
	ds_store_2addr_b32 v65, v70, v71 offset0:128 offset1:160
	ds_store_2addr_b32 v65, v72, v73 offset0:192 offset1:224
	s_wait_dscnt 0x0
	s_barrier_signal -1
	s_barrier_wait -1
	ds_load_b128 v[66:69], v0
	ds_load_b128 v[70:73], v0 offset:16
	buffer_load_b64 v[109:110], v75, s[12:15], null offen
	s_wait_dscnt 0x1
	v_mul_lo_u32 v66, v66, s24
	v_mul_lo_u32 v67, v67, s24
	s_wait_dscnt 0x0
	v_mul_lo_u32 v70, v70, s24
	v_mul_lo_u32 v71, v71, s24
	;; [unrolled: 1-line block ×6, first 2 shown]
	s_wait_loadcnt 0x0
	v_mad_co_u64_u32 v[111:112], null, v109, s25, v[66:67]
	v_mad_co_u64_u32 v[112:113], null, v110, s25, v[70:71]
	v_lshrrev_b32_e32 v70, 8, v110
	v_lshrrev_b32_e32 v113, 16, v110
	v_lshrrev_b32_e32 v66, 8, v109
	v_lshrrev_b32_e32 v110, 24, v110
	v_lshrrev_b32_e32 v76, 16, v109
	v_mad_co_u64_u32 v[70:71], null, v70, s25, v[71:72]
	v_mad_co_u64_u32 v[71:72], null, v113, s25, v[72:73]
	v_lshrrev_b32_e32 v109, 24, v109
	v_mad_co_u64_u32 v[66:67], null, v66, s25, v[67:68]
	v_mad_co_u64_u32 v[72:73], null, v110, s25, v[73:74]
	s_delay_alu instid0(VALU_DEP_3)
	v_mad_co_u64_u32 v[109:110], null, v109, s25, v[69:70]
	v_mad_co_u64_u32 v[67:68], null, v76, s25, v[68:69]
	v_and_b32_e32 v68, 0xff, v112
	v_and_b32_e32 v69, 0xff, v111
	v_lshlrev_b16 v70, 8, v70
	v_lshlrev_b16 v72, 8, v72
	v_and_b32_e32 v71, 0xff, v71
	v_lshlrev_b16 v66, 8, v66
	v_lshlrev_b16 v76, 8, v109
	v_and_b32_e32 v109, 0xff, v67
	v_or_b32_e32 v110, v68, v70
	v_or_b32_e32 v111, v71, v72
	v_or_b32_e32 v112, v69, v66
	v_wmma_i32_16x16x16_iu8 v[66:73], v[77:78], v[35:36], 0 neg_lo:[1,1,0]
	v_or_b32_e32 v76, v109, v76
	v_and_b32_e32 v77, 0xffff, v110
	v_lshlrev_b32_e32 v78, 16, v111
	s_delay_alu instid0(VALU_DEP_4) | instskip(SKIP_2) | instid1(VALU_DEP_4)
	v_wmma_i32_16x16x16_iu8 v[66:73], v[81:82], v[39:40], v[66:73] neg_lo:[1,1,0]
	v_mad_co_u64_u32 v[81:82], null, v114, s26, v[74:75]
	v_lshlrev_b32_e32 v76, 16, v76
	v_or_b32_e32 v77, v77, v78
	s_delay_alu instid0(VALU_DEP_4) | instskip(SKIP_1) | instid1(VALU_DEP_2)
	v_wmma_i32_16x16x16_iu8 v[66:73], v[85:86], v[43:44], v[66:73] neg_lo:[1,1,0]
	v_and_b32_e32 v85, 0xffff, v112
	v_wmma_i32_16x16x16_iu8 v[66:73], v[89:90], v[47:48], v[66:73] neg_lo:[1,1,0]
	s_delay_alu instid0(VALU_DEP_2) | instskip(NEXT) | instid1(VALU_DEP_2)
	v_or_b32_e32 v76, v85, v76
	v_wmma_i32_16x16x16_iu8 v[66:73], v[93:94], v[11:12], v[66:73] neg_lo:[1,1,0]
	buffer_store_b64 v[76:77], v81, s[0:3], null offen
	s_wait_dscnt 0x0
	s_barrier_signal -1
	s_barrier_wait -1
	v_wmma_i32_16x16x16_iu8 v[66:73], v[97:98], v[7:8], v[66:73] neg_lo:[1,1,0]
	s_delay_alu instid0(VALU_DEP_1) | instskip(NEXT) | instid1(VALU_DEP_1)
	v_wmma_i32_16x16x16_iu8 v[66:73], v[101:102], v[3:4], v[66:73] neg_lo:[1,1,0]
	v_wmma_i32_16x16x16_iu8 v[66:73], v[105:106], v[15:16], v[66:73] neg_lo:[1,1,0]
	ds_store_2addr_b32 v65, v66, v67 offset1:32
	ds_store_2addr_b32 v65, v68, v69 offset0:64 offset1:96
	ds_store_2addr_b32 v65, v70, v71 offset0:128 offset1:160
	;; [unrolled: 1-line block ×3, first 2 shown]
	s_wait_dscnt 0x0
	s_barrier_signal -1
	s_barrier_wait -1
	ds_load_b128 v[66:69], v0
	ds_load_b128 v[70:73], v0 offset:16
	buffer_load_b64 v[76:77], v75, s[12:15], null offen offset:32
	s_wait_dscnt 0x1
	v_mul_lo_u32 v66, v66, s24
	s_wait_dscnt 0x0
	v_mul_lo_u32 v70, v70, s24
	v_mul_lo_u32 v71, v71, s24
	;; [unrolled: 1-line block ×7, first 2 shown]
	s_wait_loadcnt 0x0
	v_mad_co_u64_u32 v[89:90], null, v77, s25, v[70:71]
	v_lshrrev_b32_e32 v70, 8, v77
	v_mad_co_u64_u32 v[85:86], null, v76, s25, v[66:67]
	v_lshrrev_b32_e32 v66, 8, v76
	v_lshrrev_b32_e32 v78, 16, v76
	;; [unrolled: 1-line block ×5, first 2 shown]
	v_mad_co_u64_u32 v[70:71], null, v70, s25, v[71:72]
	v_mad_co_u64_u32 v[66:67], null, v66, s25, v[67:68]
	s_delay_alu instid0(VALU_DEP_4) | instskip(NEXT) | instid1(VALU_DEP_4)
	v_mad_co_u64_u32 v[71:72], null, v76, s25, v[72:73]
	v_mad_co_u64_u32 v[72:73], null, v77, s25, v[73:74]
	s_delay_alu instid0(VALU_DEP_4)
	v_mad_co_u64_u32 v[73:74], null, v74, s25, v[69:70]
	v_mad_co_u64_u32 v[67:68], null, v78, s25, v[68:69]
	v_and_b32_e32 v68, 0xff, v89
	v_lshlrev_b16 v69, 8, v70
	v_lshlrev_b16 v70, 8, v72
	v_and_b32_e32 v71, 0xff, v71
	v_and_b32_e32 v74, 0xff, v85
	v_lshlrev_b16 v76, 8, v66
	v_lshlrev_b16 v77, 8, v73
	v_and_b32_e32 v78, 0xff, v67
	v_or_b32_e32 v82, v68, v69
	v_or_b32_e32 v85, v71, v70
	v_wmma_i32_16x16x16_iu8 v[66:73], v[79:80], v[35:36], 0 neg_lo:[1,1,0]
	v_or_b32_e32 v74, v74, v76
	v_or_b32_e32 v76, v78, v77
	v_and_b32_e32 v77, 0xffff, v82
	s_delay_alu instid0(VALU_DEP_4)
	v_wmma_i32_16x16x16_iu8 v[66:73], v[83:84], v[39:40], v[66:73] neg_lo:[1,1,0]
	v_lshlrev_b32_e32 v78, 16, v85
	v_and_b32_e32 v74, 0xffff, v74
	v_lshlrev_b32_e32 v76, 16, v76
	v_add_nc_u32_e32 v89, s4, v75
	v_wmma_i32_16x16x16_iu8 v[66:73], v[87:88], v[43:44], v[66:73] neg_lo:[1,1,0]
	v_or_b32_e32 v75, v77, v78
	s_delay_alu instid0(VALU_DEP_4) | instskip(NEXT) | instid1(VALU_DEP_4)
	v_or_b32_e32 v74, v74, v76
	v_add_nc_u32_e32 v76, 32, v89
	s_delay_alu instid0(VALU_DEP_4)
	v_wmma_i32_16x16x16_iu8 v[66:73], v[91:92], v[47:48], v[66:73] neg_lo:[1,1,0]
	buffer_store_b64 v[74:75], v81, s[0:3], null offen offset:32
	s_wait_dscnt 0x0
	v_wmma_i32_16x16x16_iu8 v[66:73], v[95:96], v[11:12], v[66:73] neg_lo:[1,1,0]
	s_barrier_signal -1
	s_barrier_wait -1
	s_delay_alu instid0(VALU_DEP_1) | instskip(NEXT) | instid1(VALU_DEP_1)
	v_wmma_i32_16x16x16_iu8 v[66:73], v[99:100], v[7:8], v[66:73] neg_lo:[1,1,0]
	v_wmma_i32_16x16x16_iu8 v[66:73], v[103:104], v[3:4], v[66:73] neg_lo:[1,1,0]
	s_delay_alu instid0(VALU_DEP_1)
	v_wmma_i32_16x16x16_iu8 v[66:73], v[107:108], v[15:16], v[66:73] neg_lo:[1,1,0]
	ds_store_2addr_b32 v65, v66, v67 offset1:32
	ds_store_2addr_b32 v65, v68, v69 offset0:64 offset1:96
	ds_store_2addr_b32 v65, v70, v71 offset0:128 offset1:160
	;; [unrolled: 1-line block ×3, first 2 shown]
	s_wait_dscnt 0x0
	s_barrier_signal -1
	s_barrier_wait -1
	buffer_load_b64 v[85:86], v76, s[12:15], null offen
	ds_load_b128 v[74:77], v0
	ds_load_b128 v[109:112], v0 offset:16
	v_wmma_i32_16x16x16_iu8 v[66:73], v[79:80], v[33:34], 0 neg_lo:[1,1,0]
	s_delay_alu instid0(VALU_DEP_1) | instskip(NEXT) | instid1(VALU_DEP_1)
	v_wmma_i32_16x16x16_iu8 v[66:73], v[83:84], v[37:38], v[66:73] neg_lo:[1,1,0]
	v_wmma_i32_16x16x16_iu8 v[66:73], v[87:88], v[41:42], v[66:73] neg_lo:[1,1,0]
	v_add_nc_u32_e32 v87, s5, v81
	s_delay_alu instid0(VALU_DEP_2)
	v_wmma_i32_16x16x16_iu8 v[66:73], v[91:92], v[45:46], v[66:73] neg_lo:[1,1,0]
	s_wait_dscnt 0x1
	v_mul_lo_u32 v74, v74, s24
	v_mul_lo_u32 v75, v75, s24
	s_wait_dscnt 0x0
	v_mul_lo_u32 v78, v109, s24
	v_mul_lo_u32 v79, v110, s24
	v_mul_lo_u32 v80, v111, s24
	v_mul_lo_u32 v76, v76, s24
	v_mul_lo_u32 v81, v112, s24
	v_mul_lo_u32 v77, v77, s24
	v_wmma_i32_16x16x16_iu8 v[66:73], v[95:96], v[9:10], v[66:73] neg_lo:[1,1,0]
	s_delay_alu instid0(VALU_DEP_1) | instskip(NEXT) | instid1(VALU_DEP_1)
	v_wmma_i32_16x16x16_iu8 v[66:73], v[99:100], v[5:6], v[66:73] neg_lo:[1,1,0]
	v_wmma_i32_16x16x16_iu8 v[66:73], v[103:104], v[1:2], v[66:73] neg_lo:[1,1,0]
	s_delay_alu instid0(VALU_DEP_1)
	v_wmma_i32_16x16x16_iu8 v[66:73], v[107:108], v[13:14], v[66:73] neg_lo:[1,1,0]
	s_wait_loadcnt 0x0
	v_mad_co_u64_u32 v[82:83], null, v85, s25, v[74:75]
	v_mad_co_u64_u32 v[83:84], null, v86, s25, v[78:79]
	v_lshrrev_b32_e32 v78, 8, v86
	v_lshrrev_b32_e32 v74, 8, v85
	;; [unrolled: 1-line block ×5, first 2 shown]
	v_mad_co_u64_u32 v[78:79], null, v78, s25, v[79:80]
	v_lshrrev_b32_e32 v86, 24, v86
	v_mad_co_u64_u32 v[74:75], null, v74, s25, v[75:76]
	s_delay_alu instid0(VALU_DEP_4) | instskip(NEXT) | instid1(VALU_DEP_3)
	v_mad_co_u64_u32 v[79:80], null, v85, s25, v[80:81]
	v_mad_co_u64_u32 v[80:81], null, v86, s25, v[81:82]
	;; [unrolled: 1-line block ×4, first 2 shown]
	v_and_b32_e32 v76, 0xff, v83
	v_and_b32_e32 v77, 0xff, v82
	v_lshlrev_b16 v78, 8, v78
	v_lshlrev_b16 v80, 8, v80
	v_and_b32_e32 v79, 0xff, v79
	v_lshlrev_b16 v74, 8, v74
	v_lshlrev_b16 v81, 8, v84
	v_and_b32_e32 v75, 0xff, v75
	v_or_b32_e32 v76, v76, v78
	v_or_b32_e32 v78, v79, v80
	;; [unrolled: 1-line block ×3, first 2 shown]
	v_add_nc_u32_e32 v79, 32, v87
	v_or_b32_e32 v75, v75, v81
	v_and_b32_e32 v76, 0xffff, v76
	v_lshlrev_b32_e32 v77, 16, v78
	v_and_b32_e32 v74, 0xffff, v74
	s_delay_alu instid0(VALU_DEP_4) | instskip(NEXT) | instid1(VALU_DEP_3)
	v_lshlrev_b32_e32 v78, 16, v75
	v_or_b32_e32 v75, v76, v77
	s_delay_alu instid0(VALU_DEP_2)
	v_or_b32_e32 v74, v74, v78
	buffer_store_b64 v[74:75], v79, s[0:3], null offen
	s_wait_dscnt 0x0
	s_barrier_signal -1
	s_barrier_wait -1
	ds_store_2addr_b32 v65, v66, v67 offset1:32
	ds_store_2addr_b32 v65, v68, v69 offset0:64 offset1:96
	ds_store_2addr_b32 v65, v70, v71 offset0:128 offset1:160
	ds_store_2addr_b32 v65, v72, v73 offset0:192 offset1:224
	s_wait_dscnt 0x0
	s_barrier_signal -1
	s_barrier_wait -1
	buffer_load_b64 v[82:83], v89, s[12:15], null offen
	ds_load_b128 v[74:77], v0
	ds_load_b128 v[78:81], v0 offset:16
	v_wmma_i32_16x16x16_iu8 v[66:73], v[61:62], v[33:34], 0 neg_lo:[1,1,0]
	s_delay_alu instid0(VALU_DEP_1) | instskip(NEXT) | instid1(VALU_DEP_1)
	v_wmma_i32_16x16x16_iu8 v[66:73], v[53:54], v[37:38], v[66:73] neg_lo:[1,1,0]
	v_wmma_i32_16x16x16_iu8 v[66:73], v[57:58], v[41:42], v[66:73] neg_lo:[1,1,0]
	s_delay_alu instid0(VALU_DEP_1)
	v_wmma_i32_16x16x16_iu8 v[66:73], v[49:50], v[45:46], v[66:73] neg_lo:[1,1,0]
	s_wait_dscnt 0x1
	v_mul_lo_u32 v74, v74, s24
	v_mul_lo_u32 v75, v75, s24
	s_wait_dscnt 0x0
	v_mul_lo_u32 v78, v78, s24
	v_mul_lo_u32 v79, v79, s24
	;; [unrolled: 1-line block ×6, first 2 shown]
	v_wmma_i32_16x16x16_iu8 v[66:73], v[29:30], v[9:10], v[66:73] neg_lo:[1,1,0]
	s_delay_alu instid0(VALU_DEP_1) | instskip(NEXT) | instid1(VALU_DEP_1)
	v_wmma_i32_16x16x16_iu8 v[66:73], v[25:26], v[5:6], v[66:73] neg_lo:[1,1,0]
	v_wmma_i32_16x16x16_iu8 v[66:73], v[21:22], v[1:2], v[66:73] neg_lo:[1,1,0]
	s_delay_alu instid0(VALU_DEP_1)
	v_wmma_i32_16x16x16_iu8 v[66:73], v[17:18], v[13:14], v[66:73] neg_lo:[1,1,0]
	s_wait_loadcnt 0x0
	v_mad_co_u64_u32 v[84:85], null, v82, s25, v[74:75]
	v_mad_co_u64_u32 v[85:86], null, v83, s25, v[78:79]
	v_lshrrev_b32_e32 v78, 8, v83
	v_lshrrev_b32_e32 v88, 16, v83
	;; [unrolled: 1-line block ×5, first 2 shown]
	v_mad_co_u64_u32 v[78:79], null, v78, s25, v[79:80]
	v_lshrrev_b32_e32 v83, 24, v83
	v_mad_co_u64_u32 v[79:80], null, v88, s25, v[80:81]
	v_mad_co_u64_u32 v[74:75], null, v74, s25, v[75:76]
	s_delay_alu instid0(VALU_DEP_3)
	v_mad_co_u64_u32 v[80:81], null, v83, s25, v[81:82]
	v_mad_co_u64_u32 v[81:82], null, v82, s25, v[77:78]
	;; [unrolled: 1-line block ×3, first 2 shown]
	v_and_b32_e32 v76, 0xff, v85
	v_and_b32_e32 v77, 0xff, v84
	v_lshlrev_b16 v78, 8, v78
	v_lshlrev_b16 v80, 8, v80
	v_and_b32_e32 v79, 0xff, v79
	v_lshlrev_b16 v74, 8, v74
	v_lshlrev_b16 v81, 8, v81
	v_and_b32_e32 v75, 0xff, v75
	v_or_b32_e32 v76, v76, v78
	v_or_b32_e32 v78, v79, v80
	;; [unrolled: 1-line block ×3, first 2 shown]
	v_add_nc_u32_e32 v84, s4, v89
	v_or_b32_e32 v75, v75, v81
	v_and_b32_e32 v76, 0xffff, v76
	v_lshlrev_b32_e32 v77, 16, v78
	v_and_b32_e32 v74, 0xffff, v74
	s_delay_alu instid0(VALU_DEP_4) | instskip(NEXT) | instid1(VALU_DEP_3)
	v_lshlrev_b32_e32 v78, 16, v75
	v_or_b32_e32 v75, v76, v77
	s_delay_alu instid0(VALU_DEP_2)
	v_or_b32_e32 v74, v74, v78
	buffer_store_b64 v[74:75], v87, s[0:3], null offen
	s_wait_dscnt 0x0
	s_barrier_signal -1
	s_barrier_wait -1
	ds_store_2addr_b32 v65, v66, v67 offset1:32
	ds_store_2addr_b32 v65, v68, v69 offset0:64 offset1:96
	ds_store_2addr_b32 v65, v70, v71 offset0:128 offset1:160
	;; [unrolled: 1-line block ×3, first 2 shown]
	s_wait_dscnt 0x0
	s_barrier_signal -1
	s_barrier_wait -1
	buffer_load_b64 v[82:83], v84, s[12:15], null offen
	ds_load_b128 v[74:77], v0
	ds_load_b128 v[78:81], v0 offset:16
	v_wmma_i32_16x16x16_iu8 v[66:73], v[61:62], v[35:36], 0 neg_lo:[1,1,0]
	s_delay_alu instid0(VALU_DEP_1) | instskip(NEXT) | instid1(VALU_DEP_1)
	v_wmma_i32_16x16x16_iu8 v[66:73], v[53:54], v[39:40], v[66:73] neg_lo:[1,1,0]
	v_wmma_i32_16x16x16_iu8 v[66:73], v[57:58], v[43:44], v[66:73] neg_lo:[1,1,0]
	s_delay_alu instid0(VALU_DEP_1)
	v_wmma_i32_16x16x16_iu8 v[66:73], v[49:50], v[47:48], v[66:73] neg_lo:[1,1,0]
	s_wait_dscnt 0x1
	v_mul_lo_u32 v49, v74, s24
	v_mul_lo_u32 v50, v75, s24
	s_wait_dscnt 0x0
	v_mul_lo_u32 v54, v78, s24
	v_mul_lo_u32 v58, v79, s24
	;; [unrolled: 1-line block ×6, first 2 shown]
	v_wmma_i32_16x16x16_iu8 v[66:73], v[29:30], v[11:12], v[66:73] neg_lo:[1,1,0]
	s_delay_alu instid0(VALU_DEP_1) | instskip(NEXT) | instid1(VALU_DEP_1)
	v_wmma_i32_16x16x16_iu8 v[66:73], v[25:26], v[7:8], v[66:73] neg_lo:[1,1,0]
	v_wmma_i32_16x16x16_iu8 v[66:73], v[21:22], v[3:4], v[66:73] neg_lo:[1,1,0]
	s_delay_alu instid0(VALU_DEP_1)
	v_wmma_i32_16x16x16_iu8 v[66:73], v[17:18], v[15:16], v[66:73] neg_lo:[1,1,0]
	s_wait_loadcnt 0x0
	v_mad_co_u64_u32 v[74:75], null, v82, s25, v[49:50]
	v_mad_co_u64_u32 v[75:76], null, v83, s25, v[54:55]
	v_lshrrev_b32_e32 v76, 8, v83
	v_lshrrev_b32_e32 v49, 8, v82
	;; [unrolled: 1-line block ×6, first 2 shown]
	v_mad_co_u64_u32 v[76:77], null, v76, s25, v[58:59]
	v_mad_co_u64_u32 v[49:50], null, v49, s25, v[50:51]
	s_delay_alu instid0(VALU_DEP_4) | instskip(NEXT) | instid1(VALU_DEP_4)
	v_mad_co_u64_u32 v[77:78], null, v78, s25, v[61:62]
	v_mad_co_u64_u32 v[61:62], null, v80, s25, v[62:63]
	v_mad_co_u64_u32 v[57:58], null, v79, s25, v[57:58]
	v_mad_co_u64_u32 v[53:54], null, v54, s25, v[53:54]
	v_and_b32_e32 v50, 0xff, v75
	v_and_b32_e32 v54, 0xff, v74
	v_lshlrev_b16 v58, 8, v76
	v_lshlrev_b16 v61, 8, v61
	v_and_b32_e32 v62, 0xff, v77
	v_lshlrev_b16 v49, 8, v49
	v_lshlrev_b16 v57, 8, v57
	v_and_b32_e32 v53, 0xff, v53
	v_or_b32_e32 v29, v50, v58
	v_or_b32_e32 v30, v62, v61
	;; [unrolled: 1-line block ×3, first 2 shown]
	s_delay_alu instid0(VALU_DEP_4) | instskip(NEXT) | instid1(VALU_DEP_4)
	v_or_b32_e32 v50, v53, v57
	v_and_b32_e32 v25, 0xffff, v29
	s_delay_alu instid0(VALU_DEP_4) | instskip(NEXT) | instid1(VALU_DEP_4)
	v_lshlrev_b32_e32 v26, 16, v30
	v_and_b32_e32 v29, 0xffff, v49
	v_add_nc_u32_e32 v49, s5, v87
	v_lshlrev_b32_e32 v30, 16, v50
	s_delay_alu instid0(VALU_DEP_4) | instskip(NEXT) | instid1(VALU_DEP_2)
	v_or_b32_e32 v22, v25, v26
	v_or_b32_e32 v21, v29, v30
	buffer_store_b64 v[21:22], v49, s[0:3], null offen
	s_wait_dscnt 0x0
	s_barrier_signal -1
	s_barrier_wait -1
	ds_store_2addr_b32 v65, v66, v67 offset1:32
	ds_store_2addr_b32 v65, v68, v69 offset0:64 offset1:96
	ds_store_2addr_b32 v65, v70, v71 offset0:128 offset1:160
	ds_store_2addr_b32 v65, v72, v73 offset0:192 offset1:224
	s_wait_dscnt 0x0
	s_barrier_signal -1
	s_barrier_wait -1
	buffer_load_b64 v[17:18], v84, s[12:15], null offen offset:32
	ds_load_b128 v[74:77], v0
	ds_load_b128 v[78:81], v0 offset:16
	v_wmma_i32_16x16x16_iu8 v[66:73], v[63:64], v[35:36], 0 neg_lo:[1,1,0]
	s_delay_alu instid0(VALU_DEP_1) | instskip(NEXT) | instid1(VALU_DEP_1)
	v_wmma_i32_16x16x16_iu8 v[66:73], v[55:56], v[39:40], v[66:73] neg_lo:[1,1,0]
	v_wmma_i32_16x16x16_iu8 v[66:73], v[59:60], v[43:44], v[66:73] neg_lo:[1,1,0]
	s_delay_alu instid0(VALU_DEP_1)
	v_wmma_i32_16x16x16_iu8 v[66:73], v[51:52], v[47:48], v[66:73] neg_lo:[1,1,0]
	s_wait_dscnt 0x1
	v_mul_lo_u32 v21, v74, s24
	v_mul_lo_u32 v22, v75, s24
	s_wait_dscnt 0x0
	v_mul_lo_u32 v26, v78, s24
	v_mul_lo_u32 v25, v76, s24
	;; [unrolled: 1-line block ×6, first 2 shown]
	v_wmma_i32_16x16x16_iu8 v[66:73], v[31:32], v[11:12], v[66:73] neg_lo:[1,1,0]
	s_delay_alu instid0(VALU_DEP_1) | instskip(NEXT) | instid1(VALU_DEP_1)
	v_wmma_i32_16x16x16_iu8 v[66:73], v[27:28], v[7:8], v[66:73] neg_lo:[1,1,0]
	v_wmma_i32_16x16x16_iu8 v[66:73], v[23:24], v[3:4], v[66:73] neg_lo:[1,1,0]
	s_delay_alu instid0(VALU_DEP_1)
	v_wmma_i32_16x16x16_iu8 v[66:73], v[19:20], v[15:16], v[66:73] neg_lo:[1,1,0]
	s_wait_loadcnt 0x0
	v_mad_co_u64_u32 v[39:40], null, v17, s25, v[21:22]
	v_mad_co_u64_u32 v[43:44], null, v18, s25, v[26:27]
	v_lshrrev_b32_e32 v21, 8, v17
	v_lshrrev_b32_e32 v26, 16, v17
	;; [unrolled: 1-line block ×6, first 2 shown]
	v_mad_co_u64_u32 v[17:18], null, v21, s25, v[22:23]
	s_delay_alu instid0(VALU_DEP_4) | instskip(NEXT) | instid1(VALU_DEP_4)
	v_mad_co_u64_u32 v[21:22], null, v44, s25, v[30:31]
	v_mad_co_u64_u32 v[47:48], null, v47, s25, v[35:36]
	s_delay_alu instid0(VALU_DEP_4)
	v_mad_co_u64_u32 v[35:36], null, v50, s25, v[36:37]
	v_mad_co_u64_u32 v[29:30], null, v40, s25, v[29:30]
	;; [unrolled: 1-line block ×3, first 2 shown]
	v_and_b32_e32 v18, 0xff, v43
	v_and_b32_e32 v22, 0xff, v39
	v_lshlrev_b16 v21, 8, v21
	v_lshlrev_b16 v26, 8, v35
	v_and_b32_e32 v30, 0xff, v47
	v_lshlrev_b16 v17, 8, v17
	v_lshlrev_b16 v29, 8, v29
	v_and_b32_e32 v25, 0xff, v25
	v_or_b32_e32 v11, v18, v21
	v_or_b32_e32 v12, v30, v26
	v_or_b32_e32 v17, v22, v17
	v_add_nc_u32_e32 v30, s5, v49
	v_or_b32_e32 v18, v25, v29
	v_and_b32_e32 v7, 0xffff, v11
	v_lshlrev_b32_e32 v8, 16, v12
	v_and_b32_e32 v11, 0xffff, v17
	v_add_nc_u32_e32 v29, s4, v84
	v_lshlrev_b32_e32 v12, 16, v18
	s_delay_alu instid0(VALU_DEP_4) | instskip(NEXT) | instid1(VALU_DEP_3)
	v_or_b32_e32 v4, v7, v8
	v_add_nc_u32_e32 v7, 32, v29
	s_delay_alu instid0(VALU_DEP_3)
	v_or_b32_e32 v3, v11, v12
	buffer_store_b64 v[3:4], v49, s[0:3], null offen offset:32
	s_wait_dscnt 0x0
	s_barrier_signal -1
	s_barrier_wait -1
	ds_store_2addr_b32 v65, v66, v67 offset1:32
	ds_store_2addr_b32 v65, v68, v69 offset0:64 offset1:96
	ds_store_2addr_b32 v65, v70, v71 offset0:128 offset1:160
	;; [unrolled: 1-line block ×3, first 2 shown]
	s_wait_dscnt 0x0
	s_barrier_signal -1
	s_barrier_wait -1
	buffer_load_b64 v[3:4], v7, s[12:15], null offen
	ds_load_b128 v[15:18], v0
	v_wmma_i32_16x16x16_iu8 v[66:73], v[63:64], v[33:34], 0 neg_lo:[1,1,0]
	ds_load_b128 v[33:36], v0 offset:16
	v_wmma_i32_16x16x16_iu8 v[66:73], v[55:56], v[37:38], v[66:73] neg_lo:[1,1,0]
	s_delay_alu instid0(VALU_DEP_1) | instskip(NEXT) | instid1(VALU_DEP_1)
	v_wmma_i32_16x16x16_iu8 v[66:73], v[59:60], v[41:42], v[66:73] neg_lo:[1,1,0]
	v_wmma_i32_16x16x16_iu8 v[66:73], v[51:52], v[45:46], v[66:73] neg_lo:[1,1,0]
	s_wait_dscnt 0x1
	v_mul_lo_u32 v7, v15, s24
	v_mul_lo_u32 v8, v16, s24
	;; [unrolled: 1-line block ×3, first 2 shown]
	s_wait_dscnt 0x0
	v_mul_lo_u32 v15, v33, s24
	v_mul_lo_u32 v16, v34, s24
	;; [unrolled: 1-line block ×5, first 2 shown]
	v_wmma_i32_16x16x16_iu8 v[66:73], v[31:32], v[9:10], v[66:73] neg_lo:[1,1,0]
	s_delay_alu instid0(VALU_DEP_1) | instskip(NEXT) | instid1(VALU_DEP_1)
	v_wmma_i32_16x16x16_iu8 v[66:73], v[27:28], v[5:6], v[66:73] neg_lo:[1,1,0]
	v_wmma_i32_16x16x16_iu8 v[66:73], v[23:24], v[1:2], v[66:73] neg_lo:[1,1,0]
	s_delay_alu instid0(VALU_DEP_1)
	v_wmma_i32_16x16x16_iu8 v[66:73], v[19:20], v[13:14], v[66:73] neg_lo:[1,1,0]
	s_wait_loadcnt 0x0
	v_mad_co_u64_u32 v[25:26], null, v4, s25, v[15:16]
	v_mad_co_u64_u32 v[21:22], null, v3, s25, v[7:8]
	v_lshrrev_b32_e32 v7, 8, v3
	v_lshrrev_b32_e32 v15, 8, v4
	;; [unrolled: 1-line block ×6, first 2 shown]
	v_mad_co_u64_u32 v[3:4], null, v7, s25, v[8:9]
	v_mad_co_u64_u32 v[7:8], null, v15, s25, v[16:17]
	;; [unrolled: 1-line block ×6, first 2 shown]
	v_and_b32_e32 v4, 0xff, v25
	v_and_b32_e32 v8, 0xff, v21
	v_lshlrev_b16 v7, 8, v7
	v_lshlrev_b16 v12, 8, v16
	v_and_b32_e32 v15, 0xff, v15
	v_lshlrev_b16 v3, 8, v3
	v_lshlrev_b16 v16, 8, v17
	v_and_b32_e32 v11, 0xff, v11
	v_or_b32_e32 v4, v4, v7
	v_or_b32_e32 v7, v15, v12
	;; [unrolled: 1-line block ×3, first 2 shown]
	s_delay_alu instid0(VALU_DEP_4) | instskip(NEXT) | instid1(VALU_DEP_4)
	v_or_b32_e32 v8, v11, v16
	v_and_b32_e32 v4, 0xffff, v4
	s_delay_alu instid0(VALU_DEP_4) | instskip(NEXT) | instid1(VALU_DEP_4)
	v_lshlrev_b32_e32 v5, 16, v7
	v_and_b32_e32 v3, 0xffff, v3
	v_add_nc_u32_e32 v7, 32, v30
	v_lshlrev_b32_e32 v6, 16, v8
	s_delay_alu instid0(VALU_DEP_4) | instskip(NEXT) | instid1(VALU_DEP_2)
	v_or_b32_e32 v2, v4, v5
	v_or_b32_e32 v1, v3, v6
	buffer_store_b64 v[1:2], v7, s[0:3], null offen
	s_wait_dscnt 0x0
	s_barrier_signal -1
	s_barrier_wait -1
	ds_store_2addr_b32 v65, v66, v67 offset1:32
	ds_store_2addr_b32 v65, v68, v69 offset0:64 offset1:96
	ds_store_2addr_b32 v65, v70, v71 offset0:128 offset1:160
	;; [unrolled: 1-line block ×3, first 2 shown]
	s_wait_dscnt 0x0
	s_barrier_signal -1
	s_barrier_wait -1
	buffer_load_b64 v[9:10], v29, s[12:15], null offen
	ds_load_b128 v[1:4], v0
	ds_load_b128 v[5:8], v0 offset:16
	s_wait_dscnt 0x1
	v_mul_lo_u32 v0, v1, s24
	v_mul_lo_u32 v1, v2, s24
	v_mul_lo_u32 v2, v3, s24
	v_mul_lo_u32 v3, v4, s24
	s_wait_dscnt 0x0
	v_mul_lo_u32 v4, v5, s24
	v_mul_lo_u32 v5, v6, s24
	;; [unrolled: 1-line block ×4, first 2 shown]
	s_wait_loadcnt 0x0
	v_mad_co_u64_u32 v[11:12], null, v9, s25, v[0:1]
	v_lshrrev_b32_e32 v0, 8, v9
	v_lshrrev_b32_e32 v12, 16, v9
	;; [unrolled: 1-line block ×3, first 2 shown]
	v_mad_co_u64_u32 v[8:9], null, v10, s25, v[4:5]
	v_lshrrev_b32_e32 v4, 8, v10
	v_lshrrev_b32_e32 v9, 16, v10
	;; [unrolled: 1-line block ×3, first 2 shown]
	v_mad_co_u64_u32 v[0:1], null, v0, s25, v[1:2]
	s_delay_alu instid0(VALU_DEP_4) | instskip(NEXT) | instid1(VALU_DEP_4)
	v_mad_co_u64_u32 v[4:5], null, v4, s25, v[5:6]
	v_mad_co_u64_u32 v[5:6], null, v9, s25, v[6:7]
	s_delay_alu instid0(VALU_DEP_4) | instskip(SKIP_1) | instid1(VALU_DEP_4)
	v_mad_co_u64_u32 v[6:7], null, v10, s25, v[7:8]
	v_mad_co_u64_u32 v[1:2], null, v12, s25, v[2:3]
	;; [unrolled: 1-line block ×3, first 2 shown]
	v_and_b32_e32 v2, 0xff, v8
	v_and_b32_e32 v3, 0xff, v11
	v_lshlrev_b16 v4, 8, v4
	v_lshlrev_b16 v6, 8, v6
	v_and_b32_e32 v5, 0xff, v5
	v_lshlrev_b16 v0, 8, v0
	v_lshlrev_b16 v7, 8, v9
	v_and_b32_e32 v1, 0xff, v1
	v_or_b32_e32 v2, v2, v4
	v_or_b32_e32 v4, v5, v6
	;; [unrolled: 1-line block ×3, first 2 shown]
	s_delay_alu instid0(VALU_DEP_4) | instskip(NEXT) | instid1(VALU_DEP_4)
	v_or_b32_e32 v1, v1, v7
	v_and_b32_e32 v2, 0xffff, v2
	s_delay_alu instid0(VALU_DEP_4) | instskip(NEXT) | instid1(VALU_DEP_4)
	v_lshlrev_b32_e32 v3, 16, v4
	v_and_b32_e32 v0, 0xffff, v0
	s_delay_alu instid0(VALU_DEP_4) | instskip(NEXT) | instid1(VALU_DEP_3)
	v_lshlrev_b32_e32 v4, 16, v1
	v_or_b32_e32 v1, v2, v3
	s_delay_alu instid0(VALU_DEP_2)
	v_or_b32_e32 v0, v0, v4
	buffer_store_b64 v[0:1], v30, s[0:3], null offen
	s_nop 0
	s_sendmsg sendmsg(MSG_DEALLOC_VGPRS)
	s_endpgm
	.section	.rodata,"a",@progbits
	.p2align	6, 0x0
	.amdhsa_kernel _ZN2ck36kernel_gemm_mupltipe_d_wmma_cshuffleINS_26GridwiseGemmMultipleD_WmmaIaaiiNS_5TupleIJaEEEaNS_16TensorDescriptorINS2_IJNS_5EmbedINS2_IJiiEEENS2_IJiNS_17integral_constantIiLi1EEEEEELb0EEENS_11PassThroughIiEESC_NS_7UnMergeINS2_IJiNS7_IiLi8EEEEEELb0EEESC_EEENS2_IJNS_8SequenceIJLi0EEEENSI_IJLi1EEEENSI_IJLi2EEEENSI_IJLi4EEEENSI_IJLi3EEEEEEENS2_IJNSI_IJLi1ELi2EEEESN_SM_NSI_IJLi5ELi6EEEENSI_IJLi7EEEEEEENSI_IJLi5ELi7ELi6EEEElEESU_NS2_IJNS4_INS2_IJSA_SC_SC_EEENS2_IJSJ_SK_SL_EEENS2_IJSP_SN_SM_EEENSI_IJLi3ELi4EEEElEEEEESZ_NS_16tensor_operation12element_wise11PassThroughES13_12AlphaBetaAddLNS_25InMemoryDataOperationEnumE0ELi128ELi64ELi64ELi16ELi16ELi8ELi4ELi2ELi128ENSI_IJLi4ELi32ELi1EEEENSI_IJLi1ELi0ELi2EEEES17_Li2ELi8ELi8ELb0ELb1ELb1ES16_S17_S17_Li2ELi8ELi8ELb0ELb1ELb1ELi1ELi1ENSI_IJLi1ELi32ELi1ELi4EEEELi8ELi2ELNS_13LoopSchedulerE0ELNS_15PipelineVersionE0EEEaaNS2_IJPKaEEEaSU_SU_NS2_IJNS4_INS2_IJSA_SC_SC_NSD_INS2_IJiNS7_IiLi128EEEEEELb0EEENSD_INS2_IJiNS7_IiLi64EEEEEELb0EEEEEENS2_IJSJ_SK_SL_SN_SM_EEENS2_IJSP_SN_SM_SQ_NSI_IJLi7ELi8EEEEEEENSI_IJLi5ELi6ELi7ELi8EEEElEEEEES1Q_S13_S13_S14_NS_31BlockToCTileMap_M00_N0_M01AdaptILi128ELi64ESZ_iEELb0EEEvPKT0_PKT1_T2_PT3_T4_T5_T6_T7_T8_T9_T10_T11_
		.amdhsa_group_segment_fixed_size 12400
		.amdhsa_private_segment_fixed_size 0
		.amdhsa_kernarg_size 296
		.amdhsa_user_sgpr_count 2
		.amdhsa_user_sgpr_dispatch_ptr 0
		.amdhsa_user_sgpr_queue_ptr 0
		.amdhsa_user_sgpr_kernarg_segment_ptr 1
		.amdhsa_user_sgpr_dispatch_id 0
		.amdhsa_user_sgpr_private_segment_size 0
		.amdhsa_wavefront_size32 1
		.amdhsa_uses_dynamic_stack 0
		.amdhsa_enable_private_segment 0
		.amdhsa_system_sgpr_workgroup_id_x 1
		.amdhsa_system_sgpr_workgroup_id_y 0
		.amdhsa_system_sgpr_workgroup_id_z 0
		.amdhsa_system_sgpr_workgroup_info 0
		.amdhsa_system_vgpr_workitem_id 0
		.amdhsa_next_free_vgpr 115
		.amdhsa_next_free_sgpr 30
		.amdhsa_reserve_vcc 0
		.amdhsa_float_round_mode_32 0
		.amdhsa_float_round_mode_16_64 0
		.amdhsa_float_denorm_mode_32 3
		.amdhsa_float_denorm_mode_16_64 3
		.amdhsa_fp16_overflow 0
		.amdhsa_workgroup_processor_mode 1
		.amdhsa_memory_ordered 1
		.amdhsa_forward_progress 1
		.amdhsa_inst_pref_size 46
		.amdhsa_round_robin_scheduling 0
		.amdhsa_exception_fp_ieee_invalid_op 0
		.amdhsa_exception_fp_denorm_src 0
		.amdhsa_exception_fp_ieee_div_zero 0
		.amdhsa_exception_fp_ieee_overflow 0
		.amdhsa_exception_fp_ieee_underflow 0
		.amdhsa_exception_fp_ieee_inexact 0
		.amdhsa_exception_int_div_zero 0
	.end_amdhsa_kernel
	.section	.text._ZN2ck36kernel_gemm_mupltipe_d_wmma_cshuffleINS_26GridwiseGemmMultipleD_WmmaIaaiiNS_5TupleIJaEEEaNS_16TensorDescriptorINS2_IJNS_5EmbedINS2_IJiiEEENS2_IJiNS_17integral_constantIiLi1EEEEEELb0EEENS_11PassThroughIiEESC_NS_7UnMergeINS2_IJiNS7_IiLi8EEEEEELb0EEESC_EEENS2_IJNS_8SequenceIJLi0EEEENSI_IJLi1EEEENSI_IJLi2EEEENSI_IJLi4EEEENSI_IJLi3EEEEEEENS2_IJNSI_IJLi1ELi2EEEESN_SM_NSI_IJLi5ELi6EEEENSI_IJLi7EEEEEEENSI_IJLi5ELi7ELi6EEEElEESU_NS2_IJNS4_INS2_IJSA_SC_SC_EEENS2_IJSJ_SK_SL_EEENS2_IJSP_SN_SM_EEENSI_IJLi3ELi4EEEElEEEEESZ_NS_16tensor_operation12element_wise11PassThroughES13_12AlphaBetaAddLNS_25InMemoryDataOperationEnumE0ELi128ELi64ELi64ELi16ELi16ELi8ELi4ELi2ELi128ENSI_IJLi4ELi32ELi1EEEENSI_IJLi1ELi0ELi2EEEES17_Li2ELi8ELi8ELb0ELb1ELb1ES16_S17_S17_Li2ELi8ELi8ELb0ELb1ELb1ELi1ELi1ENSI_IJLi1ELi32ELi1ELi4EEEELi8ELi2ELNS_13LoopSchedulerE0ELNS_15PipelineVersionE0EEEaaNS2_IJPKaEEEaSU_SU_NS2_IJNS4_INS2_IJSA_SC_SC_NSD_INS2_IJiNS7_IiLi128EEEEEELb0EEENSD_INS2_IJiNS7_IiLi64EEEEEELb0EEEEEENS2_IJSJ_SK_SL_SN_SM_EEENS2_IJSP_SN_SM_SQ_NSI_IJLi7ELi8EEEEEEENSI_IJLi5ELi6ELi7ELi8EEEElEEEEES1Q_S13_S13_S14_NS_31BlockToCTileMap_M00_N0_M01AdaptILi128ELi64ESZ_iEELb0EEEvPKT0_PKT1_T2_PT3_T4_T5_T6_T7_T8_T9_T10_T11_,"axG",@progbits,_ZN2ck36kernel_gemm_mupltipe_d_wmma_cshuffleINS_26GridwiseGemmMultipleD_WmmaIaaiiNS_5TupleIJaEEEaNS_16TensorDescriptorINS2_IJNS_5EmbedINS2_IJiiEEENS2_IJiNS_17integral_constantIiLi1EEEEEELb0EEENS_11PassThroughIiEESC_NS_7UnMergeINS2_IJiNS7_IiLi8EEEEEELb0EEESC_EEENS2_IJNS_8SequenceIJLi0EEEENSI_IJLi1EEEENSI_IJLi2EEEENSI_IJLi4EEEENSI_IJLi3EEEEEEENS2_IJNSI_IJLi1ELi2EEEESN_SM_NSI_IJLi5ELi6EEEENSI_IJLi7EEEEEEENSI_IJLi5ELi7ELi6EEEElEESU_NS2_IJNS4_INS2_IJSA_SC_SC_EEENS2_IJSJ_SK_SL_EEENS2_IJSP_SN_SM_EEENSI_IJLi3ELi4EEEElEEEEESZ_NS_16tensor_operation12element_wise11PassThroughES13_12AlphaBetaAddLNS_25InMemoryDataOperationEnumE0ELi128ELi64ELi64ELi16ELi16ELi8ELi4ELi2ELi128ENSI_IJLi4ELi32ELi1EEEENSI_IJLi1ELi0ELi2EEEES17_Li2ELi8ELi8ELb0ELb1ELb1ES16_S17_S17_Li2ELi8ELi8ELb0ELb1ELb1ELi1ELi1ENSI_IJLi1ELi32ELi1ELi4EEEELi8ELi2ELNS_13LoopSchedulerE0ELNS_15PipelineVersionE0EEEaaNS2_IJPKaEEEaSU_SU_NS2_IJNS4_INS2_IJSA_SC_SC_NSD_INS2_IJiNS7_IiLi128EEEEEELb0EEENSD_INS2_IJiNS7_IiLi64EEEEEELb0EEEEEENS2_IJSJ_SK_SL_SN_SM_EEENS2_IJSP_SN_SM_SQ_NSI_IJLi7ELi8EEEEEEENSI_IJLi5ELi6ELi7ELi8EEEElEEEEES1Q_S13_S13_S14_NS_31BlockToCTileMap_M00_N0_M01AdaptILi128ELi64ESZ_iEELb0EEEvPKT0_PKT1_T2_PT3_T4_T5_T6_T7_T8_T9_T10_T11_,comdat
.Lfunc_end2:
	.size	_ZN2ck36kernel_gemm_mupltipe_d_wmma_cshuffleINS_26GridwiseGemmMultipleD_WmmaIaaiiNS_5TupleIJaEEEaNS_16TensorDescriptorINS2_IJNS_5EmbedINS2_IJiiEEENS2_IJiNS_17integral_constantIiLi1EEEEEELb0EEENS_11PassThroughIiEESC_NS_7UnMergeINS2_IJiNS7_IiLi8EEEEEELb0EEESC_EEENS2_IJNS_8SequenceIJLi0EEEENSI_IJLi1EEEENSI_IJLi2EEEENSI_IJLi4EEEENSI_IJLi3EEEEEEENS2_IJNSI_IJLi1ELi2EEEESN_SM_NSI_IJLi5ELi6EEEENSI_IJLi7EEEEEEENSI_IJLi5ELi7ELi6EEEElEESU_NS2_IJNS4_INS2_IJSA_SC_SC_EEENS2_IJSJ_SK_SL_EEENS2_IJSP_SN_SM_EEENSI_IJLi3ELi4EEEElEEEEESZ_NS_16tensor_operation12element_wise11PassThroughES13_12AlphaBetaAddLNS_25InMemoryDataOperationEnumE0ELi128ELi64ELi64ELi16ELi16ELi8ELi4ELi2ELi128ENSI_IJLi4ELi32ELi1EEEENSI_IJLi1ELi0ELi2EEEES17_Li2ELi8ELi8ELb0ELb1ELb1ES16_S17_S17_Li2ELi8ELi8ELb0ELb1ELb1ELi1ELi1ENSI_IJLi1ELi32ELi1ELi4EEEELi8ELi2ELNS_13LoopSchedulerE0ELNS_15PipelineVersionE0EEEaaNS2_IJPKaEEEaSU_SU_NS2_IJNS4_INS2_IJSA_SC_SC_NSD_INS2_IJiNS7_IiLi128EEEEEELb0EEENSD_INS2_IJiNS7_IiLi64EEEEEELb0EEEEEENS2_IJSJ_SK_SL_SN_SM_EEENS2_IJSP_SN_SM_SQ_NSI_IJLi7ELi8EEEEEEENSI_IJLi5ELi6ELi7ELi8EEEElEEEEES1Q_S13_S13_S14_NS_31BlockToCTileMap_M00_N0_M01AdaptILi128ELi64ESZ_iEELb0EEEvPKT0_PKT1_T2_PT3_T4_T5_T6_T7_T8_T9_T10_T11_, .Lfunc_end2-_ZN2ck36kernel_gemm_mupltipe_d_wmma_cshuffleINS_26GridwiseGemmMultipleD_WmmaIaaiiNS_5TupleIJaEEEaNS_16TensorDescriptorINS2_IJNS_5EmbedINS2_IJiiEEENS2_IJiNS_17integral_constantIiLi1EEEEEELb0EEENS_11PassThroughIiEESC_NS_7UnMergeINS2_IJiNS7_IiLi8EEEEEELb0EEESC_EEENS2_IJNS_8SequenceIJLi0EEEENSI_IJLi1EEEENSI_IJLi2EEEENSI_IJLi4EEEENSI_IJLi3EEEEEEENS2_IJNSI_IJLi1ELi2EEEESN_SM_NSI_IJLi5ELi6EEEENSI_IJLi7EEEEEEENSI_IJLi5ELi7ELi6EEEElEESU_NS2_IJNS4_INS2_IJSA_SC_SC_EEENS2_IJSJ_SK_SL_EEENS2_IJSP_SN_SM_EEENSI_IJLi3ELi4EEEElEEEEESZ_NS_16tensor_operation12element_wise11PassThroughES13_12AlphaBetaAddLNS_25InMemoryDataOperationEnumE0ELi128ELi64ELi64ELi16ELi16ELi8ELi4ELi2ELi128ENSI_IJLi4ELi32ELi1EEEENSI_IJLi1ELi0ELi2EEEES17_Li2ELi8ELi8ELb0ELb1ELb1ES16_S17_S17_Li2ELi8ELi8ELb0ELb1ELb1ELi1ELi1ENSI_IJLi1ELi32ELi1ELi4EEEELi8ELi2ELNS_13LoopSchedulerE0ELNS_15PipelineVersionE0EEEaaNS2_IJPKaEEEaSU_SU_NS2_IJNS4_INS2_IJSA_SC_SC_NSD_INS2_IJiNS7_IiLi128EEEEEELb0EEENSD_INS2_IJiNS7_IiLi64EEEEEELb0EEEEEENS2_IJSJ_SK_SL_SN_SM_EEENS2_IJSP_SN_SM_SQ_NSI_IJLi7ELi8EEEEEEENSI_IJLi5ELi6ELi7ELi8EEEElEEEEES1Q_S13_S13_S14_NS_31BlockToCTileMap_M00_N0_M01AdaptILi128ELi64ESZ_iEELb0EEEvPKT0_PKT1_T2_PT3_T4_T5_T6_T7_T8_T9_T10_T11_
                                        ; -- End function
	.set _ZN2ck36kernel_gemm_mupltipe_d_wmma_cshuffleINS_26GridwiseGemmMultipleD_WmmaIaaiiNS_5TupleIJaEEEaNS_16TensorDescriptorINS2_IJNS_5EmbedINS2_IJiiEEENS2_IJiNS_17integral_constantIiLi1EEEEEELb0EEENS_11PassThroughIiEESC_NS_7UnMergeINS2_IJiNS7_IiLi8EEEEEELb0EEESC_EEENS2_IJNS_8SequenceIJLi0EEEENSI_IJLi1EEEENSI_IJLi2EEEENSI_IJLi4EEEENSI_IJLi3EEEEEEENS2_IJNSI_IJLi1ELi2EEEESN_SM_NSI_IJLi5ELi6EEEENSI_IJLi7EEEEEEENSI_IJLi5ELi7ELi6EEEElEESU_NS2_IJNS4_INS2_IJSA_SC_SC_EEENS2_IJSJ_SK_SL_EEENS2_IJSP_SN_SM_EEENSI_IJLi3ELi4EEEElEEEEESZ_NS_16tensor_operation12element_wise11PassThroughES13_12AlphaBetaAddLNS_25InMemoryDataOperationEnumE0ELi128ELi64ELi64ELi16ELi16ELi8ELi4ELi2ELi128ENSI_IJLi4ELi32ELi1EEEENSI_IJLi1ELi0ELi2EEEES17_Li2ELi8ELi8ELb0ELb1ELb1ES16_S17_S17_Li2ELi8ELi8ELb0ELb1ELb1ELi1ELi1ENSI_IJLi1ELi32ELi1ELi4EEEELi8ELi2ELNS_13LoopSchedulerE0ELNS_15PipelineVersionE0EEEaaNS2_IJPKaEEEaSU_SU_NS2_IJNS4_INS2_IJSA_SC_SC_NSD_INS2_IJiNS7_IiLi128EEEEEELb0EEENSD_INS2_IJiNS7_IiLi64EEEEEELb0EEEEEENS2_IJSJ_SK_SL_SN_SM_EEENS2_IJSP_SN_SM_SQ_NSI_IJLi7ELi8EEEEEEENSI_IJLi5ELi6ELi7ELi8EEEElEEEEES1Q_S13_S13_S14_NS_31BlockToCTileMap_M00_N0_M01AdaptILi128ELi64ESZ_iEELb0EEEvPKT0_PKT1_T2_PT3_T4_T5_T6_T7_T8_T9_T10_T11_.num_vgpr, 115
	.set _ZN2ck36kernel_gemm_mupltipe_d_wmma_cshuffleINS_26GridwiseGemmMultipleD_WmmaIaaiiNS_5TupleIJaEEEaNS_16TensorDescriptorINS2_IJNS_5EmbedINS2_IJiiEEENS2_IJiNS_17integral_constantIiLi1EEEEEELb0EEENS_11PassThroughIiEESC_NS_7UnMergeINS2_IJiNS7_IiLi8EEEEEELb0EEESC_EEENS2_IJNS_8SequenceIJLi0EEEENSI_IJLi1EEEENSI_IJLi2EEEENSI_IJLi4EEEENSI_IJLi3EEEEEEENS2_IJNSI_IJLi1ELi2EEEESN_SM_NSI_IJLi5ELi6EEEENSI_IJLi7EEEEEEENSI_IJLi5ELi7ELi6EEEElEESU_NS2_IJNS4_INS2_IJSA_SC_SC_EEENS2_IJSJ_SK_SL_EEENS2_IJSP_SN_SM_EEENSI_IJLi3ELi4EEEElEEEEESZ_NS_16tensor_operation12element_wise11PassThroughES13_12AlphaBetaAddLNS_25InMemoryDataOperationEnumE0ELi128ELi64ELi64ELi16ELi16ELi8ELi4ELi2ELi128ENSI_IJLi4ELi32ELi1EEEENSI_IJLi1ELi0ELi2EEEES17_Li2ELi8ELi8ELb0ELb1ELb1ES16_S17_S17_Li2ELi8ELi8ELb0ELb1ELb1ELi1ELi1ENSI_IJLi1ELi32ELi1ELi4EEEELi8ELi2ELNS_13LoopSchedulerE0ELNS_15PipelineVersionE0EEEaaNS2_IJPKaEEEaSU_SU_NS2_IJNS4_INS2_IJSA_SC_SC_NSD_INS2_IJiNS7_IiLi128EEEEEELb0EEENSD_INS2_IJiNS7_IiLi64EEEEEELb0EEEEEENS2_IJSJ_SK_SL_SN_SM_EEENS2_IJSP_SN_SM_SQ_NSI_IJLi7ELi8EEEEEEENSI_IJLi5ELi6ELi7ELi8EEEElEEEEES1Q_S13_S13_S14_NS_31BlockToCTileMap_M00_N0_M01AdaptILi128ELi64ESZ_iEELb0EEEvPKT0_PKT1_T2_PT3_T4_T5_T6_T7_T8_T9_T10_T11_.num_agpr, 0
	.set _ZN2ck36kernel_gemm_mupltipe_d_wmma_cshuffleINS_26GridwiseGemmMultipleD_WmmaIaaiiNS_5TupleIJaEEEaNS_16TensorDescriptorINS2_IJNS_5EmbedINS2_IJiiEEENS2_IJiNS_17integral_constantIiLi1EEEEEELb0EEENS_11PassThroughIiEESC_NS_7UnMergeINS2_IJiNS7_IiLi8EEEEEELb0EEESC_EEENS2_IJNS_8SequenceIJLi0EEEENSI_IJLi1EEEENSI_IJLi2EEEENSI_IJLi4EEEENSI_IJLi3EEEEEEENS2_IJNSI_IJLi1ELi2EEEESN_SM_NSI_IJLi5ELi6EEEENSI_IJLi7EEEEEEENSI_IJLi5ELi7ELi6EEEElEESU_NS2_IJNS4_INS2_IJSA_SC_SC_EEENS2_IJSJ_SK_SL_EEENS2_IJSP_SN_SM_EEENSI_IJLi3ELi4EEEElEEEEESZ_NS_16tensor_operation12element_wise11PassThroughES13_12AlphaBetaAddLNS_25InMemoryDataOperationEnumE0ELi128ELi64ELi64ELi16ELi16ELi8ELi4ELi2ELi128ENSI_IJLi4ELi32ELi1EEEENSI_IJLi1ELi0ELi2EEEES17_Li2ELi8ELi8ELb0ELb1ELb1ES16_S17_S17_Li2ELi8ELi8ELb0ELb1ELb1ELi1ELi1ENSI_IJLi1ELi32ELi1ELi4EEEELi8ELi2ELNS_13LoopSchedulerE0ELNS_15PipelineVersionE0EEEaaNS2_IJPKaEEEaSU_SU_NS2_IJNS4_INS2_IJSA_SC_SC_NSD_INS2_IJiNS7_IiLi128EEEEEELb0EEENSD_INS2_IJiNS7_IiLi64EEEEEELb0EEEEEENS2_IJSJ_SK_SL_SN_SM_EEENS2_IJSP_SN_SM_SQ_NSI_IJLi7ELi8EEEEEEENSI_IJLi5ELi6ELi7ELi8EEEElEEEEES1Q_S13_S13_S14_NS_31BlockToCTileMap_M00_N0_M01AdaptILi128ELi64ESZ_iEELb0EEEvPKT0_PKT1_T2_PT3_T4_T5_T6_T7_T8_T9_T10_T11_.numbered_sgpr, 30
	.set _ZN2ck36kernel_gemm_mupltipe_d_wmma_cshuffleINS_26GridwiseGemmMultipleD_WmmaIaaiiNS_5TupleIJaEEEaNS_16TensorDescriptorINS2_IJNS_5EmbedINS2_IJiiEEENS2_IJiNS_17integral_constantIiLi1EEEEEELb0EEENS_11PassThroughIiEESC_NS_7UnMergeINS2_IJiNS7_IiLi8EEEEEELb0EEESC_EEENS2_IJNS_8SequenceIJLi0EEEENSI_IJLi1EEEENSI_IJLi2EEEENSI_IJLi4EEEENSI_IJLi3EEEEEEENS2_IJNSI_IJLi1ELi2EEEESN_SM_NSI_IJLi5ELi6EEEENSI_IJLi7EEEEEEENSI_IJLi5ELi7ELi6EEEElEESU_NS2_IJNS4_INS2_IJSA_SC_SC_EEENS2_IJSJ_SK_SL_EEENS2_IJSP_SN_SM_EEENSI_IJLi3ELi4EEEElEEEEESZ_NS_16tensor_operation12element_wise11PassThroughES13_12AlphaBetaAddLNS_25InMemoryDataOperationEnumE0ELi128ELi64ELi64ELi16ELi16ELi8ELi4ELi2ELi128ENSI_IJLi4ELi32ELi1EEEENSI_IJLi1ELi0ELi2EEEES17_Li2ELi8ELi8ELb0ELb1ELb1ES16_S17_S17_Li2ELi8ELi8ELb0ELb1ELb1ELi1ELi1ENSI_IJLi1ELi32ELi1ELi4EEEELi8ELi2ELNS_13LoopSchedulerE0ELNS_15PipelineVersionE0EEEaaNS2_IJPKaEEEaSU_SU_NS2_IJNS4_INS2_IJSA_SC_SC_NSD_INS2_IJiNS7_IiLi128EEEEEELb0EEENSD_INS2_IJiNS7_IiLi64EEEEEELb0EEEEEENS2_IJSJ_SK_SL_SN_SM_EEENS2_IJSP_SN_SM_SQ_NSI_IJLi7ELi8EEEEEEENSI_IJLi5ELi6ELi7ELi8EEEElEEEEES1Q_S13_S13_S14_NS_31BlockToCTileMap_M00_N0_M01AdaptILi128ELi64ESZ_iEELb0EEEvPKT0_PKT1_T2_PT3_T4_T5_T6_T7_T8_T9_T10_T11_.num_named_barrier, 0
	.set _ZN2ck36kernel_gemm_mupltipe_d_wmma_cshuffleINS_26GridwiseGemmMultipleD_WmmaIaaiiNS_5TupleIJaEEEaNS_16TensorDescriptorINS2_IJNS_5EmbedINS2_IJiiEEENS2_IJiNS_17integral_constantIiLi1EEEEEELb0EEENS_11PassThroughIiEESC_NS_7UnMergeINS2_IJiNS7_IiLi8EEEEEELb0EEESC_EEENS2_IJNS_8SequenceIJLi0EEEENSI_IJLi1EEEENSI_IJLi2EEEENSI_IJLi4EEEENSI_IJLi3EEEEEEENS2_IJNSI_IJLi1ELi2EEEESN_SM_NSI_IJLi5ELi6EEEENSI_IJLi7EEEEEEENSI_IJLi5ELi7ELi6EEEElEESU_NS2_IJNS4_INS2_IJSA_SC_SC_EEENS2_IJSJ_SK_SL_EEENS2_IJSP_SN_SM_EEENSI_IJLi3ELi4EEEElEEEEESZ_NS_16tensor_operation12element_wise11PassThroughES13_12AlphaBetaAddLNS_25InMemoryDataOperationEnumE0ELi128ELi64ELi64ELi16ELi16ELi8ELi4ELi2ELi128ENSI_IJLi4ELi32ELi1EEEENSI_IJLi1ELi0ELi2EEEES17_Li2ELi8ELi8ELb0ELb1ELb1ES16_S17_S17_Li2ELi8ELi8ELb0ELb1ELb1ELi1ELi1ENSI_IJLi1ELi32ELi1ELi4EEEELi8ELi2ELNS_13LoopSchedulerE0ELNS_15PipelineVersionE0EEEaaNS2_IJPKaEEEaSU_SU_NS2_IJNS4_INS2_IJSA_SC_SC_NSD_INS2_IJiNS7_IiLi128EEEEEELb0EEENSD_INS2_IJiNS7_IiLi64EEEEEELb0EEEEEENS2_IJSJ_SK_SL_SN_SM_EEENS2_IJSP_SN_SM_SQ_NSI_IJLi7ELi8EEEEEEENSI_IJLi5ELi6ELi7ELi8EEEElEEEEES1Q_S13_S13_S14_NS_31BlockToCTileMap_M00_N0_M01AdaptILi128ELi64ESZ_iEELb0EEEvPKT0_PKT1_T2_PT3_T4_T5_T6_T7_T8_T9_T10_T11_.private_seg_size, 0
	.set _ZN2ck36kernel_gemm_mupltipe_d_wmma_cshuffleINS_26GridwiseGemmMultipleD_WmmaIaaiiNS_5TupleIJaEEEaNS_16TensorDescriptorINS2_IJNS_5EmbedINS2_IJiiEEENS2_IJiNS_17integral_constantIiLi1EEEEEELb0EEENS_11PassThroughIiEESC_NS_7UnMergeINS2_IJiNS7_IiLi8EEEEEELb0EEESC_EEENS2_IJNS_8SequenceIJLi0EEEENSI_IJLi1EEEENSI_IJLi2EEEENSI_IJLi4EEEENSI_IJLi3EEEEEEENS2_IJNSI_IJLi1ELi2EEEESN_SM_NSI_IJLi5ELi6EEEENSI_IJLi7EEEEEEENSI_IJLi5ELi7ELi6EEEElEESU_NS2_IJNS4_INS2_IJSA_SC_SC_EEENS2_IJSJ_SK_SL_EEENS2_IJSP_SN_SM_EEENSI_IJLi3ELi4EEEElEEEEESZ_NS_16tensor_operation12element_wise11PassThroughES13_12AlphaBetaAddLNS_25InMemoryDataOperationEnumE0ELi128ELi64ELi64ELi16ELi16ELi8ELi4ELi2ELi128ENSI_IJLi4ELi32ELi1EEEENSI_IJLi1ELi0ELi2EEEES17_Li2ELi8ELi8ELb0ELb1ELb1ES16_S17_S17_Li2ELi8ELi8ELb0ELb1ELb1ELi1ELi1ENSI_IJLi1ELi32ELi1ELi4EEEELi8ELi2ELNS_13LoopSchedulerE0ELNS_15PipelineVersionE0EEEaaNS2_IJPKaEEEaSU_SU_NS2_IJNS4_INS2_IJSA_SC_SC_NSD_INS2_IJiNS7_IiLi128EEEEEELb0EEENSD_INS2_IJiNS7_IiLi64EEEEEELb0EEEEEENS2_IJSJ_SK_SL_SN_SM_EEENS2_IJSP_SN_SM_SQ_NSI_IJLi7ELi8EEEEEEENSI_IJLi5ELi6ELi7ELi8EEEElEEEEES1Q_S13_S13_S14_NS_31BlockToCTileMap_M00_N0_M01AdaptILi128ELi64ESZ_iEELb0EEEvPKT0_PKT1_T2_PT3_T4_T5_T6_T7_T8_T9_T10_T11_.uses_vcc, 0
	.set _ZN2ck36kernel_gemm_mupltipe_d_wmma_cshuffleINS_26GridwiseGemmMultipleD_WmmaIaaiiNS_5TupleIJaEEEaNS_16TensorDescriptorINS2_IJNS_5EmbedINS2_IJiiEEENS2_IJiNS_17integral_constantIiLi1EEEEEELb0EEENS_11PassThroughIiEESC_NS_7UnMergeINS2_IJiNS7_IiLi8EEEEEELb0EEESC_EEENS2_IJNS_8SequenceIJLi0EEEENSI_IJLi1EEEENSI_IJLi2EEEENSI_IJLi4EEEENSI_IJLi3EEEEEEENS2_IJNSI_IJLi1ELi2EEEESN_SM_NSI_IJLi5ELi6EEEENSI_IJLi7EEEEEEENSI_IJLi5ELi7ELi6EEEElEESU_NS2_IJNS4_INS2_IJSA_SC_SC_EEENS2_IJSJ_SK_SL_EEENS2_IJSP_SN_SM_EEENSI_IJLi3ELi4EEEElEEEEESZ_NS_16tensor_operation12element_wise11PassThroughES13_12AlphaBetaAddLNS_25InMemoryDataOperationEnumE0ELi128ELi64ELi64ELi16ELi16ELi8ELi4ELi2ELi128ENSI_IJLi4ELi32ELi1EEEENSI_IJLi1ELi0ELi2EEEES17_Li2ELi8ELi8ELb0ELb1ELb1ES16_S17_S17_Li2ELi8ELi8ELb0ELb1ELb1ELi1ELi1ENSI_IJLi1ELi32ELi1ELi4EEEELi8ELi2ELNS_13LoopSchedulerE0ELNS_15PipelineVersionE0EEEaaNS2_IJPKaEEEaSU_SU_NS2_IJNS4_INS2_IJSA_SC_SC_NSD_INS2_IJiNS7_IiLi128EEEEEELb0EEENSD_INS2_IJiNS7_IiLi64EEEEEELb0EEEEEENS2_IJSJ_SK_SL_SN_SM_EEENS2_IJSP_SN_SM_SQ_NSI_IJLi7ELi8EEEEEEENSI_IJLi5ELi6ELi7ELi8EEEElEEEEES1Q_S13_S13_S14_NS_31BlockToCTileMap_M00_N0_M01AdaptILi128ELi64ESZ_iEELb0EEEvPKT0_PKT1_T2_PT3_T4_T5_T6_T7_T8_T9_T10_T11_.uses_flat_scratch, 0
	.set _ZN2ck36kernel_gemm_mupltipe_d_wmma_cshuffleINS_26GridwiseGemmMultipleD_WmmaIaaiiNS_5TupleIJaEEEaNS_16TensorDescriptorINS2_IJNS_5EmbedINS2_IJiiEEENS2_IJiNS_17integral_constantIiLi1EEEEEELb0EEENS_11PassThroughIiEESC_NS_7UnMergeINS2_IJiNS7_IiLi8EEEEEELb0EEESC_EEENS2_IJNS_8SequenceIJLi0EEEENSI_IJLi1EEEENSI_IJLi2EEEENSI_IJLi4EEEENSI_IJLi3EEEEEEENS2_IJNSI_IJLi1ELi2EEEESN_SM_NSI_IJLi5ELi6EEEENSI_IJLi7EEEEEEENSI_IJLi5ELi7ELi6EEEElEESU_NS2_IJNS4_INS2_IJSA_SC_SC_EEENS2_IJSJ_SK_SL_EEENS2_IJSP_SN_SM_EEENSI_IJLi3ELi4EEEElEEEEESZ_NS_16tensor_operation12element_wise11PassThroughES13_12AlphaBetaAddLNS_25InMemoryDataOperationEnumE0ELi128ELi64ELi64ELi16ELi16ELi8ELi4ELi2ELi128ENSI_IJLi4ELi32ELi1EEEENSI_IJLi1ELi0ELi2EEEES17_Li2ELi8ELi8ELb0ELb1ELb1ES16_S17_S17_Li2ELi8ELi8ELb0ELb1ELb1ELi1ELi1ENSI_IJLi1ELi32ELi1ELi4EEEELi8ELi2ELNS_13LoopSchedulerE0ELNS_15PipelineVersionE0EEEaaNS2_IJPKaEEEaSU_SU_NS2_IJNS4_INS2_IJSA_SC_SC_NSD_INS2_IJiNS7_IiLi128EEEEEELb0EEENSD_INS2_IJiNS7_IiLi64EEEEEELb0EEEEEENS2_IJSJ_SK_SL_SN_SM_EEENS2_IJSP_SN_SM_SQ_NSI_IJLi7ELi8EEEEEEENSI_IJLi5ELi6ELi7ELi8EEEElEEEEES1Q_S13_S13_S14_NS_31BlockToCTileMap_M00_N0_M01AdaptILi128ELi64ESZ_iEELb0EEEvPKT0_PKT1_T2_PT3_T4_T5_T6_T7_T8_T9_T10_T11_.has_dyn_sized_stack, 0
	.set _ZN2ck36kernel_gemm_mupltipe_d_wmma_cshuffleINS_26GridwiseGemmMultipleD_WmmaIaaiiNS_5TupleIJaEEEaNS_16TensorDescriptorINS2_IJNS_5EmbedINS2_IJiiEEENS2_IJiNS_17integral_constantIiLi1EEEEEELb0EEENS_11PassThroughIiEESC_NS_7UnMergeINS2_IJiNS7_IiLi8EEEEEELb0EEESC_EEENS2_IJNS_8SequenceIJLi0EEEENSI_IJLi1EEEENSI_IJLi2EEEENSI_IJLi4EEEENSI_IJLi3EEEEEEENS2_IJNSI_IJLi1ELi2EEEESN_SM_NSI_IJLi5ELi6EEEENSI_IJLi7EEEEEEENSI_IJLi5ELi7ELi6EEEElEESU_NS2_IJNS4_INS2_IJSA_SC_SC_EEENS2_IJSJ_SK_SL_EEENS2_IJSP_SN_SM_EEENSI_IJLi3ELi4EEEElEEEEESZ_NS_16tensor_operation12element_wise11PassThroughES13_12AlphaBetaAddLNS_25InMemoryDataOperationEnumE0ELi128ELi64ELi64ELi16ELi16ELi8ELi4ELi2ELi128ENSI_IJLi4ELi32ELi1EEEENSI_IJLi1ELi0ELi2EEEES17_Li2ELi8ELi8ELb0ELb1ELb1ES16_S17_S17_Li2ELi8ELi8ELb0ELb1ELb1ELi1ELi1ENSI_IJLi1ELi32ELi1ELi4EEEELi8ELi2ELNS_13LoopSchedulerE0ELNS_15PipelineVersionE0EEEaaNS2_IJPKaEEEaSU_SU_NS2_IJNS4_INS2_IJSA_SC_SC_NSD_INS2_IJiNS7_IiLi128EEEEEELb0EEENSD_INS2_IJiNS7_IiLi64EEEEEELb0EEEEEENS2_IJSJ_SK_SL_SN_SM_EEENS2_IJSP_SN_SM_SQ_NSI_IJLi7ELi8EEEEEEENSI_IJLi5ELi6ELi7ELi8EEEElEEEEES1Q_S13_S13_S14_NS_31BlockToCTileMap_M00_N0_M01AdaptILi128ELi64ESZ_iEELb0EEEvPKT0_PKT1_T2_PT3_T4_T5_T6_T7_T8_T9_T10_T11_.has_recursion, 0
	.set _ZN2ck36kernel_gemm_mupltipe_d_wmma_cshuffleINS_26GridwiseGemmMultipleD_WmmaIaaiiNS_5TupleIJaEEEaNS_16TensorDescriptorINS2_IJNS_5EmbedINS2_IJiiEEENS2_IJiNS_17integral_constantIiLi1EEEEEELb0EEENS_11PassThroughIiEESC_NS_7UnMergeINS2_IJiNS7_IiLi8EEEEEELb0EEESC_EEENS2_IJNS_8SequenceIJLi0EEEENSI_IJLi1EEEENSI_IJLi2EEEENSI_IJLi4EEEENSI_IJLi3EEEEEEENS2_IJNSI_IJLi1ELi2EEEESN_SM_NSI_IJLi5ELi6EEEENSI_IJLi7EEEEEEENSI_IJLi5ELi7ELi6EEEElEESU_NS2_IJNS4_INS2_IJSA_SC_SC_EEENS2_IJSJ_SK_SL_EEENS2_IJSP_SN_SM_EEENSI_IJLi3ELi4EEEElEEEEESZ_NS_16tensor_operation12element_wise11PassThroughES13_12AlphaBetaAddLNS_25InMemoryDataOperationEnumE0ELi128ELi64ELi64ELi16ELi16ELi8ELi4ELi2ELi128ENSI_IJLi4ELi32ELi1EEEENSI_IJLi1ELi0ELi2EEEES17_Li2ELi8ELi8ELb0ELb1ELb1ES16_S17_S17_Li2ELi8ELi8ELb0ELb1ELb1ELi1ELi1ENSI_IJLi1ELi32ELi1ELi4EEEELi8ELi2ELNS_13LoopSchedulerE0ELNS_15PipelineVersionE0EEEaaNS2_IJPKaEEEaSU_SU_NS2_IJNS4_INS2_IJSA_SC_SC_NSD_INS2_IJiNS7_IiLi128EEEEEELb0EEENSD_INS2_IJiNS7_IiLi64EEEEEELb0EEEEEENS2_IJSJ_SK_SL_SN_SM_EEENS2_IJSP_SN_SM_SQ_NSI_IJLi7ELi8EEEEEEENSI_IJLi5ELi6ELi7ELi8EEEElEEEEES1Q_S13_S13_S14_NS_31BlockToCTileMap_M00_N0_M01AdaptILi128ELi64ESZ_iEELb0EEEvPKT0_PKT1_T2_PT3_T4_T5_T6_T7_T8_T9_T10_T11_.has_indirect_call, 0
	.section	.AMDGPU.csdata,"",@progbits
; Kernel info:
; codeLenInByte = 5852
; TotalNumSgprs: 30
; NumVgprs: 115
; ScratchSize: 0
; MemoryBound: 0
; FloatMode: 240
; IeeeMode: 1
; LDSByteSize: 12400 bytes/workgroup (compile time only)
; SGPRBlocks: 0
; VGPRBlocks: 14
; NumSGPRsForWavesPerEU: 30
; NumVGPRsForWavesPerEU: 115
; Occupancy: 12
; WaveLimiterHint : 0
; COMPUTE_PGM_RSRC2:SCRATCH_EN: 0
; COMPUTE_PGM_RSRC2:USER_SGPR: 2
; COMPUTE_PGM_RSRC2:TRAP_HANDLER: 0
; COMPUTE_PGM_RSRC2:TGID_X_EN: 1
; COMPUTE_PGM_RSRC2:TGID_Y_EN: 0
; COMPUTE_PGM_RSRC2:TGID_Z_EN: 0
; COMPUTE_PGM_RSRC2:TIDIG_COMP_CNT: 0
	.section	.AMDGPU.gpr_maximums,"",@progbits
	.set amdgpu.max_num_vgpr, 0
	.set amdgpu.max_num_agpr, 0
	.set amdgpu.max_num_sgpr, 0
	.section	.AMDGPU.csdata,"",@progbits
	.type	__hip_cuid_5adac2f606b89335,@object ; @__hip_cuid_5adac2f606b89335
	.section	.bss,"aw",@nobits
	.globl	__hip_cuid_5adac2f606b89335
__hip_cuid_5adac2f606b89335:
	.byte	0                               ; 0x0
	.size	__hip_cuid_5adac2f606b89335, 1

	.ident	"AMD clang version 22.0.0git (https://github.com/RadeonOpenCompute/llvm-project roc-7.2.4 26084 f58b06dce1f9c15707c5f808fd002e18c2accf7e)"
	.section	".note.GNU-stack","",@progbits
	.addrsig
	.addrsig_sym __hip_cuid_5adac2f606b89335
	.amdgpu_metadata
---
amdhsa.kernels:
  - .args:           []
    .group_segment_fixed_size: 0
    .kernarg_segment_align: 4
    .kernarg_segment_size: 0
    .language:       OpenCL C
    .language_version:
      - 2
      - 0
    .max_flat_workgroup_size: 1024
    .name:           _ZN2ckL12flush_icacheEv
    .private_segment_fixed_size: 0
    .sgpr_count:     0
    .sgpr_spill_count: 0
    .symbol:         _ZN2ckL12flush_icacheEv.kd
    .uniform_work_group_size: 1
    .uses_dynamic_stack: false
    .vgpr_count:     0
    .vgpr_spill_count: 0
    .wavefront_size: 32
    .workgroup_processor_mode: 1
  - .args:
      - .actual_access:  read_only
        .address_space:  global
        .offset:         0
        .size:           8
        .value_kind:     global_buffer
      - .actual_access:  read_only
        .address_space:  global
        .offset:         8
        .size:           8
        .value_kind:     global_buffer
      - .address_space:  global
        .offset:         16
        .size:           8
        .value_kind:     global_buffer
      - .actual_access:  write_only
        .address_space:  global
        .offset:         24
        .size:           8
        .value_kind:     global_buffer
      - .offset:         32
        .size:           56
        .value_kind:     by_value
      - .offset:         88
        .size:           56
        .value_kind:     by_value
      - .offset:         144
        .size:           64
        .value_kind:     by_value
      - .offset:         208
        .size:           64
        .value_kind:     by_value
      - .offset:         272
        .size:           1
        .value_kind:     by_value
      - .offset:         273
        .size:           1
        .value_kind:     by_value
      - .offset:         276
        .size:           8
        .value_kind:     by_value
      - .offset:         284
        .size:           12
        .value_kind:     by_value
    .group_segment_fixed_size: 12400
    .kernarg_segment_align: 8
    .kernarg_segment_size: 296
    .language:       OpenCL C
    .language_version:
      - 2
      - 0
    .max_flat_workgroup_size: 256
    .name:           _ZN2ck36kernel_gemm_mupltipe_d_wmma_cshuffleINS_26GridwiseGemmMultipleD_WmmaIaaiiNS_5TupleIJaEEEaNS_16TensorDescriptorINS2_IJNS_5EmbedINS2_IJiiEEENS2_IJiNS_17integral_constantIiLi1EEEEEELb0EEENS_11PassThroughIiEESC_NS_7UnMergeINS2_IJiNS7_IiLi8EEEEEELb0EEESC_EEENS2_IJNS_8SequenceIJLi0EEEENSI_IJLi1EEEENSI_IJLi2EEEENSI_IJLi4EEEENSI_IJLi3EEEEEEENS2_IJNSI_IJLi1ELi2EEEESN_SM_NSI_IJLi5ELi6EEEENSI_IJLi7EEEEEEENSI_IJLi5ELi7ELi6EEEElEESU_NS2_IJNS4_INS2_IJSA_SC_SC_EEENS2_IJSJ_SK_SL_EEENS2_IJSP_SN_SM_EEENSI_IJLi3ELi4EEEElEEEEESZ_NS_16tensor_operation12element_wise11PassThroughES13_12AlphaBetaAddLNS_25InMemoryDataOperationEnumE0ELi128ELi64ELi64ELi16ELi16ELi8ELi4ELi2ELi128ENSI_IJLi4ELi32ELi1EEEENSI_IJLi1ELi0ELi2EEEES17_Li2ELi8ELi8ELb0ELb1ELb1ES16_S17_S17_Li2ELi8ELi8ELb0ELb1ELb1ELi1ELi1ENSI_IJLi1ELi32ELi1ELi4EEEELi8ELi2ELNS_13LoopSchedulerE0ELNS_15PipelineVersionE0EEEaaNS2_IJPKaEEEaSU_SU_NS2_IJNS4_INS2_IJSA_SC_SC_NSD_INS2_IJiNS7_IiLi128EEEEEELb0EEENSD_INS2_IJiNS7_IiLi64EEEEEELb0EEEEEENS2_IJSJ_SK_SL_SN_SM_EEENS2_IJSP_SN_SM_SQ_NSI_IJLi7ELi8EEEEEEENSI_IJLi5ELi6ELi7ELi8EEEElEEEEES1Q_S13_S13_S14_NS_31BlockToCTileMap_M00_N0_M01AdaptILi128ELi64ESZ_iEELb1EEEvPKT0_PKT1_T2_PT3_T4_T5_T6_T7_T8_T9_T10_T11_
    .private_segment_fixed_size: 0
    .sgpr_count:     30
    .sgpr_spill_count: 0
    .symbol:         _ZN2ck36kernel_gemm_mupltipe_d_wmma_cshuffleINS_26GridwiseGemmMultipleD_WmmaIaaiiNS_5TupleIJaEEEaNS_16TensorDescriptorINS2_IJNS_5EmbedINS2_IJiiEEENS2_IJiNS_17integral_constantIiLi1EEEEEELb0EEENS_11PassThroughIiEESC_NS_7UnMergeINS2_IJiNS7_IiLi8EEEEEELb0EEESC_EEENS2_IJNS_8SequenceIJLi0EEEENSI_IJLi1EEEENSI_IJLi2EEEENSI_IJLi4EEEENSI_IJLi3EEEEEEENS2_IJNSI_IJLi1ELi2EEEESN_SM_NSI_IJLi5ELi6EEEENSI_IJLi7EEEEEEENSI_IJLi5ELi7ELi6EEEElEESU_NS2_IJNS4_INS2_IJSA_SC_SC_EEENS2_IJSJ_SK_SL_EEENS2_IJSP_SN_SM_EEENSI_IJLi3ELi4EEEElEEEEESZ_NS_16tensor_operation12element_wise11PassThroughES13_12AlphaBetaAddLNS_25InMemoryDataOperationEnumE0ELi128ELi64ELi64ELi16ELi16ELi8ELi4ELi2ELi128ENSI_IJLi4ELi32ELi1EEEENSI_IJLi1ELi0ELi2EEEES17_Li2ELi8ELi8ELb0ELb1ELb1ES16_S17_S17_Li2ELi8ELi8ELb0ELb1ELb1ELi1ELi1ENSI_IJLi1ELi32ELi1ELi4EEEELi8ELi2ELNS_13LoopSchedulerE0ELNS_15PipelineVersionE0EEEaaNS2_IJPKaEEEaSU_SU_NS2_IJNS4_INS2_IJSA_SC_SC_NSD_INS2_IJiNS7_IiLi128EEEEEELb0EEENSD_INS2_IJiNS7_IiLi64EEEEEELb0EEEEEENS2_IJSJ_SK_SL_SN_SM_EEENS2_IJSP_SN_SM_SQ_NSI_IJLi7ELi8EEEEEEENSI_IJLi5ELi6ELi7ELi8EEEElEEEEES1Q_S13_S13_S14_NS_31BlockToCTileMap_M00_N0_M01AdaptILi128ELi64ESZ_iEELb1EEEvPKT0_PKT1_T2_PT3_T4_T5_T6_T7_T8_T9_T10_T11_.kd
    .uniform_work_group_size: 1
    .uses_dynamic_stack: false
    .vgpr_count:     170
    .vgpr_spill_count: 0
    .wavefront_size: 32
    .workgroup_processor_mode: 1
  - .args:
      - .actual_access:  read_only
        .address_space:  global
        .offset:         0
        .size:           8
        .value_kind:     global_buffer
      - .actual_access:  read_only
        .address_space:  global
        .offset:         8
        .size:           8
        .value_kind:     global_buffer
      - .address_space:  global
        .offset:         16
        .size:           8
        .value_kind:     global_buffer
      - .actual_access:  write_only
        .address_space:  global
        .offset:         24
        .size:           8
        .value_kind:     global_buffer
      - .offset:         32
        .size:           56
        .value_kind:     by_value
      - .offset:         88
        .size:           56
        .value_kind:     by_value
      - .offset:         144
        .size:           64
        .value_kind:     by_value
      - .offset:         208
        .size:           64
        .value_kind:     by_value
      - .offset:         272
        .size:           1
        .value_kind:     by_value
      - .offset:         273
        .size:           1
        .value_kind:     by_value
      - .offset:         276
        .size:           8
        .value_kind:     by_value
      - .offset:         284
        .size:           12
        .value_kind:     by_value
    .group_segment_fixed_size: 12400
    .kernarg_segment_align: 8
    .kernarg_segment_size: 296
    .language:       OpenCL C
    .language_version:
      - 2
      - 0
    .max_flat_workgroup_size: 256
    .name:           _ZN2ck36kernel_gemm_mupltipe_d_wmma_cshuffleINS_26GridwiseGemmMultipleD_WmmaIaaiiNS_5TupleIJaEEEaNS_16TensorDescriptorINS2_IJNS_5EmbedINS2_IJiiEEENS2_IJiNS_17integral_constantIiLi1EEEEEELb0EEENS_11PassThroughIiEESC_NS_7UnMergeINS2_IJiNS7_IiLi8EEEEEELb0EEESC_EEENS2_IJNS_8SequenceIJLi0EEEENSI_IJLi1EEEENSI_IJLi2EEEENSI_IJLi4EEEENSI_IJLi3EEEEEEENS2_IJNSI_IJLi1ELi2EEEESN_SM_NSI_IJLi5ELi6EEEENSI_IJLi7EEEEEEENSI_IJLi5ELi7ELi6EEEElEESU_NS2_IJNS4_INS2_IJSA_SC_SC_EEENS2_IJSJ_SK_SL_EEENS2_IJSP_SN_SM_EEENSI_IJLi3ELi4EEEElEEEEESZ_NS_16tensor_operation12element_wise11PassThroughES13_12AlphaBetaAddLNS_25InMemoryDataOperationEnumE0ELi128ELi64ELi64ELi16ELi16ELi8ELi4ELi2ELi128ENSI_IJLi4ELi32ELi1EEEENSI_IJLi1ELi0ELi2EEEES17_Li2ELi8ELi8ELb0ELb1ELb1ES16_S17_S17_Li2ELi8ELi8ELb0ELb1ELb1ELi1ELi1ENSI_IJLi1ELi32ELi1ELi4EEEELi8ELi2ELNS_13LoopSchedulerE0ELNS_15PipelineVersionE0EEEaaNS2_IJPKaEEEaSU_SU_NS2_IJNS4_INS2_IJSA_SC_SC_NSD_INS2_IJiNS7_IiLi128EEEEEELb0EEENSD_INS2_IJiNS7_IiLi64EEEEEELb0EEEEEENS2_IJSJ_SK_SL_SN_SM_EEENS2_IJSP_SN_SM_SQ_NSI_IJLi7ELi8EEEEEEENSI_IJLi5ELi6ELi7ELi8EEEElEEEEES1Q_S13_S13_S14_NS_31BlockToCTileMap_M00_N0_M01AdaptILi128ELi64ESZ_iEELb0EEEvPKT0_PKT1_T2_PT3_T4_T5_T6_T7_T8_T9_T10_T11_
    .private_segment_fixed_size: 0
    .sgpr_count:     30
    .sgpr_spill_count: 0
    .symbol:         _ZN2ck36kernel_gemm_mupltipe_d_wmma_cshuffleINS_26GridwiseGemmMultipleD_WmmaIaaiiNS_5TupleIJaEEEaNS_16TensorDescriptorINS2_IJNS_5EmbedINS2_IJiiEEENS2_IJiNS_17integral_constantIiLi1EEEEEELb0EEENS_11PassThroughIiEESC_NS_7UnMergeINS2_IJiNS7_IiLi8EEEEEELb0EEESC_EEENS2_IJNS_8SequenceIJLi0EEEENSI_IJLi1EEEENSI_IJLi2EEEENSI_IJLi4EEEENSI_IJLi3EEEEEEENS2_IJNSI_IJLi1ELi2EEEESN_SM_NSI_IJLi5ELi6EEEENSI_IJLi7EEEEEEENSI_IJLi5ELi7ELi6EEEElEESU_NS2_IJNS4_INS2_IJSA_SC_SC_EEENS2_IJSJ_SK_SL_EEENS2_IJSP_SN_SM_EEENSI_IJLi3ELi4EEEElEEEEESZ_NS_16tensor_operation12element_wise11PassThroughES13_12AlphaBetaAddLNS_25InMemoryDataOperationEnumE0ELi128ELi64ELi64ELi16ELi16ELi8ELi4ELi2ELi128ENSI_IJLi4ELi32ELi1EEEENSI_IJLi1ELi0ELi2EEEES17_Li2ELi8ELi8ELb0ELb1ELb1ES16_S17_S17_Li2ELi8ELi8ELb0ELb1ELb1ELi1ELi1ENSI_IJLi1ELi32ELi1ELi4EEEELi8ELi2ELNS_13LoopSchedulerE0ELNS_15PipelineVersionE0EEEaaNS2_IJPKaEEEaSU_SU_NS2_IJNS4_INS2_IJSA_SC_SC_NSD_INS2_IJiNS7_IiLi128EEEEEELb0EEENSD_INS2_IJiNS7_IiLi64EEEEEELb0EEEEEENS2_IJSJ_SK_SL_SN_SM_EEENS2_IJSP_SN_SM_SQ_NSI_IJLi7ELi8EEEEEEENSI_IJLi5ELi6ELi7ELi8EEEElEEEEES1Q_S13_S13_S14_NS_31BlockToCTileMap_M00_N0_M01AdaptILi128ELi64ESZ_iEELb0EEEvPKT0_PKT1_T2_PT3_T4_T5_T6_T7_T8_T9_T10_T11_.kd
    .uniform_work_group_size: 1
    .uses_dynamic_stack: false
    .vgpr_count:     115
    .vgpr_spill_count: 0
    .wavefront_size: 32
    .workgroup_processor_mode: 1
amdhsa.target:   amdgcn-amd-amdhsa--gfx1201
amdhsa.version:
  - 1
  - 2
...

	.end_amdgpu_metadata
